;; amdgpu-corpus repo=ROCm/rocFFT kind=compiled arch=gfx1030 opt=O3
	.text
	.amdgcn_target "amdgcn-amd-amdhsa--gfx1030"
	.amdhsa_code_object_version 6
	.protected	fft_rtc_back_len1904_factors_17_2_2_7_4_wgs_119_tpt_119_halfLds_sp_ip_CI_unitstride_sbrr_dirReg ; -- Begin function fft_rtc_back_len1904_factors_17_2_2_7_4_wgs_119_tpt_119_halfLds_sp_ip_CI_unitstride_sbrr_dirReg
	.globl	fft_rtc_back_len1904_factors_17_2_2_7_4_wgs_119_tpt_119_halfLds_sp_ip_CI_unitstride_sbrr_dirReg
	.p2align	8
	.type	fft_rtc_back_len1904_factors_17_2_2_7_4_wgs_119_tpt_119_halfLds_sp_ip_CI_unitstride_sbrr_dirReg,@function
fft_rtc_back_len1904_factors_17_2_2_7_4_wgs_119_tpt_119_halfLds_sp_ip_CI_unitstride_sbrr_dirReg: ; @fft_rtc_back_len1904_factors_17_2_2_7_4_wgs_119_tpt_119_halfLds_sp_ip_CI_unitstride_sbrr_dirReg
; %bb.0:
	s_clause 0x2
	s_load_dwordx4 s[8:11], s[4:5], 0x0
	s_load_dwordx2 s[2:3], s[4:5], 0x50
	s_load_dwordx2 s[12:13], s[4:5], 0x18
	v_mul_u32_u24_e32 v1, 0x227, v0
	v_mov_b32_e32 v3, 0
	v_add_nc_u32_sdwa v5, s6, v1 dst_sel:DWORD dst_unused:UNUSED_PAD src0_sel:DWORD src1_sel:WORD_1
	v_mov_b32_e32 v1, 0
	v_mov_b32_e32 v6, v3
	v_mov_b32_e32 v2, 0
	s_waitcnt lgkmcnt(0)
	v_cmp_lt_u64_e64 s0, s[10:11], 2
	s_and_b32 vcc_lo, exec_lo, s0
	s_cbranch_vccnz .LBB0_8
; %bb.1:
	s_load_dwordx2 s[0:1], s[4:5], 0x10
	v_mov_b32_e32 v1, 0
	s_add_u32 s6, s12, 8
	v_mov_b32_e32 v2, 0
	s_addc_u32 s7, s13, 0
	s_mov_b64 s[16:17], 1
	s_waitcnt lgkmcnt(0)
	s_add_u32 s14, s0, 8
	s_addc_u32 s15, s1, 0
.LBB0_2:                                ; =>This Inner Loop Header: Depth=1
	s_load_dwordx2 s[18:19], s[14:15], 0x0
                                        ; implicit-def: $vgpr7_vgpr8
	s_mov_b32 s0, exec_lo
	s_waitcnt lgkmcnt(0)
	v_or_b32_e32 v4, s19, v6
	v_cmpx_ne_u64_e32 0, v[3:4]
	s_xor_b32 s1, exec_lo, s0
	s_cbranch_execz .LBB0_4
; %bb.3:                                ;   in Loop: Header=BB0_2 Depth=1
	v_cvt_f32_u32_e32 v4, s18
	v_cvt_f32_u32_e32 v7, s19
	s_sub_u32 s0, 0, s18
	s_subb_u32 s20, 0, s19
	v_fmac_f32_e32 v4, 0x4f800000, v7
	v_rcp_f32_e32 v4, v4
	v_mul_f32_e32 v4, 0x5f7ffffc, v4
	v_mul_f32_e32 v7, 0x2f800000, v4
	v_trunc_f32_e32 v7, v7
	v_fmac_f32_e32 v4, 0xcf800000, v7
	v_cvt_u32_f32_e32 v7, v7
	v_cvt_u32_f32_e32 v4, v4
	v_mul_lo_u32 v8, s0, v7
	v_mul_hi_u32 v9, s0, v4
	v_mul_lo_u32 v10, s20, v4
	v_add_nc_u32_e32 v8, v9, v8
	v_mul_lo_u32 v9, s0, v4
	v_add_nc_u32_e32 v8, v8, v10
	v_mul_hi_u32 v10, v4, v9
	v_mul_lo_u32 v11, v4, v8
	v_mul_hi_u32 v12, v4, v8
	v_mul_hi_u32 v13, v7, v9
	v_mul_lo_u32 v9, v7, v9
	v_mul_hi_u32 v14, v7, v8
	v_mul_lo_u32 v8, v7, v8
	v_add_co_u32 v10, vcc_lo, v10, v11
	v_add_co_ci_u32_e32 v11, vcc_lo, 0, v12, vcc_lo
	v_add_co_u32 v9, vcc_lo, v10, v9
	v_add_co_ci_u32_e32 v9, vcc_lo, v11, v13, vcc_lo
	v_add_co_ci_u32_e32 v10, vcc_lo, 0, v14, vcc_lo
	v_add_co_u32 v8, vcc_lo, v9, v8
	v_add_co_ci_u32_e32 v9, vcc_lo, 0, v10, vcc_lo
	v_add_co_u32 v4, vcc_lo, v4, v8
	v_add_co_ci_u32_e32 v7, vcc_lo, v7, v9, vcc_lo
	v_mul_hi_u32 v8, s0, v4
	v_mul_lo_u32 v10, s20, v4
	v_mul_lo_u32 v9, s0, v7
	v_add_nc_u32_e32 v8, v8, v9
	v_mul_lo_u32 v9, s0, v4
	v_add_nc_u32_e32 v8, v8, v10
	v_mul_hi_u32 v10, v4, v9
	v_mul_lo_u32 v11, v4, v8
	v_mul_hi_u32 v12, v4, v8
	v_mul_hi_u32 v13, v7, v9
	v_mul_lo_u32 v9, v7, v9
	v_mul_hi_u32 v14, v7, v8
	v_mul_lo_u32 v8, v7, v8
	v_add_co_u32 v10, vcc_lo, v10, v11
	v_add_co_ci_u32_e32 v11, vcc_lo, 0, v12, vcc_lo
	v_add_co_u32 v9, vcc_lo, v10, v9
	v_add_co_ci_u32_e32 v9, vcc_lo, v11, v13, vcc_lo
	v_add_co_ci_u32_e32 v10, vcc_lo, 0, v14, vcc_lo
	v_add_co_u32 v8, vcc_lo, v9, v8
	v_add_co_ci_u32_e32 v9, vcc_lo, 0, v10, vcc_lo
	v_add_co_u32 v4, vcc_lo, v4, v8
	v_add_co_ci_u32_e32 v11, vcc_lo, v7, v9, vcc_lo
	v_mul_hi_u32 v13, v5, v4
	v_mad_u64_u32 v[9:10], null, v6, v4, 0
	v_mad_u64_u32 v[7:8], null, v5, v11, 0
	;; [unrolled: 1-line block ×3, first 2 shown]
	v_add_co_u32 v4, vcc_lo, v13, v7
	v_add_co_ci_u32_e32 v7, vcc_lo, 0, v8, vcc_lo
	v_add_co_u32 v4, vcc_lo, v4, v9
	v_add_co_ci_u32_e32 v4, vcc_lo, v7, v10, vcc_lo
	v_add_co_ci_u32_e32 v7, vcc_lo, 0, v12, vcc_lo
	v_add_co_u32 v4, vcc_lo, v4, v11
	v_add_co_ci_u32_e32 v9, vcc_lo, 0, v7, vcc_lo
	v_mul_lo_u32 v10, s19, v4
	v_mad_u64_u32 v[7:8], null, s18, v4, 0
	v_mul_lo_u32 v11, s18, v9
	v_sub_co_u32 v7, vcc_lo, v5, v7
	v_add3_u32 v8, v8, v11, v10
	v_sub_nc_u32_e32 v10, v6, v8
	v_subrev_co_ci_u32_e64 v10, s0, s19, v10, vcc_lo
	v_add_co_u32 v11, s0, v4, 2
	v_add_co_ci_u32_e64 v12, s0, 0, v9, s0
	v_sub_co_u32 v13, s0, v7, s18
	v_sub_co_ci_u32_e32 v8, vcc_lo, v6, v8, vcc_lo
	v_subrev_co_ci_u32_e64 v10, s0, 0, v10, s0
	v_cmp_le_u32_e32 vcc_lo, s18, v13
	v_cmp_eq_u32_e64 s0, s19, v8
	v_cndmask_b32_e64 v13, 0, -1, vcc_lo
	v_cmp_le_u32_e32 vcc_lo, s19, v10
	v_cndmask_b32_e64 v14, 0, -1, vcc_lo
	v_cmp_le_u32_e32 vcc_lo, s18, v7
	;; [unrolled: 2-line block ×3, first 2 shown]
	v_cndmask_b32_e64 v15, 0, -1, vcc_lo
	v_cmp_eq_u32_e32 vcc_lo, s19, v10
	v_cndmask_b32_e64 v7, v15, v7, s0
	v_cndmask_b32_e32 v10, v14, v13, vcc_lo
	v_add_co_u32 v13, vcc_lo, v4, 1
	v_add_co_ci_u32_e32 v14, vcc_lo, 0, v9, vcc_lo
	v_cmp_ne_u32_e32 vcc_lo, 0, v10
	v_cndmask_b32_e32 v8, v14, v12, vcc_lo
	v_cndmask_b32_e32 v10, v13, v11, vcc_lo
	v_cmp_ne_u32_e32 vcc_lo, 0, v7
	v_cndmask_b32_e32 v8, v9, v8, vcc_lo
	v_cndmask_b32_e32 v7, v4, v10, vcc_lo
.LBB0_4:                                ;   in Loop: Header=BB0_2 Depth=1
	s_andn2_saveexec_b32 s0, s1
	s_cbranch_execz .LBB0_6
; %bb.5:                                ;   in Loop: Header=BB0_2 Depth=1
	v_cvt_f32_u32_e32 v4, s18
	s_sub_i32 s1, 0, s18
	v_rcp_iflag_f32_e32 v4, v4
	v_mul_f32_e32 v4, 0x4f7ffffe, v4
	v_cvt_u32_f32_e32 v4, v4
	v_mul_lo_u32 v7, s1, v4
	v_mul_hi_u32 v7, v4, v7
	v_add_nc_u32_e32 v4, v4, v7
	v_mul_hi_u32 v4, v5, v4
	v_mul_lo_u32 v7, v4, s18
	v_add_nc_u32_e32 v8, 1, v4
	v_sub_nc_u32_e32 v7, v5, v7
	v_subrev_nc_u32_e32 v9, s18, v7
	v_cmp_le_u32_e32 vcc_lo, s18, v7
	v_cndmask_b32_e32 v7, v7, v9, vcc_lo
	v_cndmask_b32_e32 v4, v4, v8, vcc_lo
	v_cmp_le_u32_e32 vcc_lo, s18, v7
	v_add_nc_u32_e32 v8, 1, v4
	v_cndmask_b32_e32 v7, v4, v8, vcc_lo
	v_mov_b32_e32 v8, v3
.LBB0_6:                                ;   in Loop: Header=BB0_2 Depth=1
	s_or_b32 exec_lo, exec_lo, s0
	s_load_dwordx2 s[0:1], s[6:7], 0x0
	v_mul_lo_u32 v4, v8, s18
	v_mul_lo_u32 v11, v7, s19
	v_mad_u64_u32 v[9:10], null, v7, s18, 0
	s_add_u32 s16, s16, 1
	s_addc_u32 s17, s17, 0
	s_add_u32 s6, s6, 8
	s_addc_u32 s7, s7, 0
	;; [unrolled: 2-line block ×3, first 2 shown]
	v_add3_u32 v4, v10, v11, v4
	v_sub_co_u32 v5, vcc_lo, v5, v9
	v_sub_co_ci_u32_e32 v4, vcc_lo, v6, v4, vcc_lo
	s_waitcnt lgkmcnt(0)
	v_mul_lo_u32 v6, s1, v5
	v_mul_lo_u32 v4, s0, v4
	v_mad_u64_u32 v[1:2], null, s0, v5, v[1:2]
	v_cmp_ge_u64_e64 s0, s[16:17], s[10:11]
	s_and_b32 vcc_lo, exec_lo, s0
	v_add3_u32 v2, v6, v2, v4
	s_cbranch_vccnz .LBB0_9
; %bb.7:                                ;   in Loop: Header=BB0_2 Depth=1
	v_mov_b32_e32 v5, v7
	v_mov_b32_e32 v6, v8
	s_branch .LBB0_2
.LBB0_8:
	v_mov_b32_e32 v8, v6
	v_mov_b32_e32 v7, v5
.LBB0_9:
	s_lshl_b64 s[0:1], s[10:11], 3
	v_mul_hi_u32 v3, 0x226b903, v0
	s_add_u32 s0, s12, s0
	s_addc_u32 s1, s13, s1
                                        ; implicit-def: $vgpr40
                                        ; implicit-def: $vgpr38
                                        ; implicit-def: $vgpr36
                                        ; implicit-def: $vgpr31
                                        ; implicit-def: $vgpr19
                                        ; implicit-def: $vgpr13
                                        ; implicit-def: $vgpr11
                                        ; implicit-def: $vgpr17
                                        ; implicit-def: $vgpr15
                                        ; implicit-def: $vgpr9
                                        ; implicit-def: $vgpr29
                                        ; implicit-def: $vgpr27
                                        ; implicit-def: $vgpr25
                                        ; implicit-def: $vgpr21
                                        ; implicit-def: $vgpr23
	s_load_dwordx2 s[0:1], s[0:1], 0x0
	s_load_dwordx2 s[4:5], s[4:5], 0x20
	v_mul_u32_u24_e32 v3, 0x77, v3
	v_sub_nc_u32_e32 v0, v0, v3
	s_waitcnt lgkmcnt(0)
	v_mul_lo_u32 v4, s0, v8
	v_mul_lo_u32 v5, s1, v7
	v_mad_u64_u32 v[1:2], null, s0, v7, v[1:2]
	v_cmp_gt_u64_e32 vcc_lo, s[4:5], v[7:8]
	v_cmp_gt_u32_e64 s0, 0x70, v0
                                        ; implicit-def: $vgpr7
	s_and_b32 s1, vcc_lo, s0
	v_add3_u32 v2, v5, v2, v4
	v_mov_b32_e32 v5, 0
	v_mov_b32_e32 v4, 0
	v_lshlrev_b64 v[2:3], 3, v[1:2]
	s_and_saveexec_b32 s4, s1
	s_cbranch_execz .LBB0_11
; %bb.10:
	v_mov_b32_e32 v1, 0
	v_add_co_u32 v26, s1, s2, v2
	v_add_co_ci_u32_e64 v27, s1, s3, v3, s1
	v_lshlrev_b64 v[4:5], 3, v[0:1]
	v_or_b32_e32 v6, 0x380, v0
	v_mov_b32_e32 v7, v1
	v_add_co_u32 v20, s1, v26, v4
	v_add_co_ci_u32_e64 v21, s1, v27, v5, s1
	v_lshlrev_b64 v[6:7], 3, v[6:7]
	v_add_co_u32 v8, s1, 0x800, v20
	v_add_co_ci_u32_e64 v9, s1, 0, v21, s1
	v_add_co_u32 v10, s1, 0x1000, v20
	v_add_co_ci_u32_e64 v11, s1, 0, v21, s1
	;; [unrolled: 2-line block ×5, first 2 shown]
	s_clause 0xb
	global_load_dwordx2 v[4:5], v[20:21], off
	global_load_dwordx2 v[39:40], v[20:21], off offset:896
	global_load_dwordx2 v[37:38], v[20:21], off offset:1792
	;; [unrolled: 1-line block ×9, first 2 shown]
	global_load_dwordx2 v[16:17], v[16:17], off
	global_load_dwordx2 v[14:15], v[14:15], off offset:1920
	v_or_b32_e32 v22, 0x700, v0
	v_mov_b32_e32 v23, v1
	v_add_co_u32 v24, s1, 0x2800, v20
	v_add_co_ci_u32_e64 v25, s1, 0, v21, s1
	v_lshlrev_b64 v[22:23], 3, v[22:23]
	v_add_co_u32 v20, s1, 0x3000, v20
	v_add_co_ci_u32_e64 v21, s1, 0, v21, s1
	v_add_co_u32 v22, s1, v26, v22
	v_add_co_ci_u32_e64 v23, s1, v27, v23, s1
	s_clause 0x4
	global_load_dwordx2 v[28:29], v[24:25], off offset:512
	global_load_dwordx2 v[26:27], v[24:25], off offset:1408
	;; [unrolled: 1-line block ×4, first 2 shown]
	global_load_dwordx2 v[22:23], v[22:23], off
.LBB0_11:
	s_or_b32 exec_lo, exec_lo, s4
	s_waitcnt vmcnt(0)
	v_sub_f32_e32 v60, v40, v23
	v_add_f32_e32 v33, v39, v22
	v_sub_f32_e32 v61, v38, v21
	v_add_f32_e32 v41, v37, v20
	v_sub_f32_e32 v59, v36, v25
	v_mul_f32_e32 v34, 0xbeb8f4ab, v60
	v_add_f32_e32 v44, v35, v24
	v_mul_f32_e32 v43, 0xbf2c7751, v61
	v_sub_f32_e32 v58, v31, v27
	v_mul_f32_e32 v46, 0xbf65296c, v59
	v_fma_f32 v1, 0x3f6eb680, v33, -v34
	v_add_f32_e32 v47, v30, v26
	v_fma_f32 v32, 0x3f3d2fb0, v41, -v43
	v_sub_f32_e32 v57, v19, v29
	v_mul_f32_e32 v52, 0xbf7ee86f, v58
	v_add_f32_e32 v1, v4, v1
	v_fma_f32 v42, 0x3ee437d1, v44, -v46
	v_add_f32_e32 v48, v18, v28
	v_sub_f32_e32 v56, v13, v9
	v_mul_f32_e32 v53, 0xbf763a35, v57
	v_add_f32_e32 v1, v32, v1
	v_fma_f32 v32, 0x3dbcf732, v47, -v52
	v_add_f32_e32 v45, v12, v8
	;; [unrolled: 5-line block ×3, first 2 shown]
	v_mul_f32_e32 v42, 0xbf06c442, v55
	v_fma_f32 v51, 0xbf1a4643, v45, -v49
	v_add_f32_e32 v1, v32, v1
	v_sub_f32_e32 v32, v17, v15
	v_fma_f32 v62, 0xbf59a7d5, v54, -v42
	v_add_f32_e32 v1, v50, v1
	v_add_f32_e32 v50, v16, v14
	;; [unrolled: 1-line block ×3, first 2 shown]
	v_mul_f32_e32 v51, 0xbe3c28d5, v32
	v_add_f32_e32 v1, v62, v1
	v_fma_f32 v62, 0xbf7ba420, v50, -v51
	v_add_f32_e32 v1, v62, v1
	s_and_saveexec_b32 s1, s0
	s_cbranch_execz .LBB0_13
; %bb.12:
	v_mul_f32_e32 v62, 0xbf7ba420, v33
	v_mul_f32_e32 v63, 0x3f6eb680, v41
	;; [unrolled: 1-line block ×5, first 2 shown]
	v_fmamk_f32 v66, v60, 0x3e3c28d5, v62
	v_fmac_f32_e32 v62, 0xbe3c28d5, v60
	v_fmamk_f32 v68, v61, 0xbeb8f4ab, v63
	v_fmac_f32_e32 v63, 0x3eb8f4ab, v61
	v_fmamk_f32 v70, v59, 0x3f06c442, v67
	v_add_f32_e32 v66, v4, v66
	v_add_f32_e32 v62, v4, v62
	v_fmac_f32_e32 v67, 0xbf06c442, v59
	v_mul_f32_e32 v65, 0x3ee437d1, v41
	v_mul_f32_e32 v71, 0x3dbcf732, v44
	v_add_f32_e32 v66, v68, v66
	v_add_f32_e32 v62, v63, v62
	v_mul_f32_e32 v63, 0xbf1a4643, v48
	v_fmamk_f32 v68, v58, 0xbf2c7751, v69
	v_fmac_f32_e32 v69, 0x3f2c7751, v58
	v_add_f32_e32 v66, v70, v66
	v_add_f32_e32 v62, v67, v62
	v_fmamk_f32 v67, v60, 0x3f06c442, v64
	v_fmamk_f32 v70, v57, 0x3f4c4adb, v63
	v_fmac_f32_e32 v63, 0xbf4c4adb, v57
	v_add_f32_e32 v66, v68, v66
	v_add_f32_e32 v62, v69, v62
	v_mul_f32_e32 v68, 0x3ee437d1, v45
	v_fmamk_f32 v69, v61, 0xbf65296c, v65
	v_add_f32_e32 v67, v4, v67
	v_add_f32_e32 v66, v70, v66
	;; [unrolled: 1-line block ×3, first 2 shown]
	v_fmamk_f32 v63, v56, 0xbf65296c, v68
	v_fmac_f32_e32 v68, 0x3f65296c, v56
	v_mul_f32_e32 v70, 0xbe8c1d8e, v54
	v_add_f32_e32 v67, v69, v67
	v_mul_f32_e32 v69, 0xbf1a4643, v47
	v_fmac_f32_e32 v64, 0xbf06c442, v60
	v_add_f32_e32 v62, v68, v62
	v_fmamk_f32 v68, v59, 0x3f7ee86f, v71
	v_add_f32_e32 v63, v63, v66
	v_fmamk_f32 v66, v55, 0x3f763a35, v70
	v_mul_f32_e32 v73, 0x3f6eb680, v48
	v_add_f32_e32 v64, v4, v64
	v_add_f32_e32 v67, v68, v67
	v_fmamk_f32 v68, v58, 0xbf4c4adb, v69
	v_fmac_f32_e32 v65, 0x3f65296c, v61
	v_add_f32_e32 v63, v66, v63
	v_fmac_f32_e32 v71, 0xbf7ee86f, v59
	v_fmac_f32_e32 v70, 0xbf763a35, v55
	v_add_f32_e32 v66, v68, v67
	v_fmamk_f32 v67, v57, 0x3eb8f4ab, v73
	v_mul_f32_e32 v68, 0xbf7ba420, v45
	v_add_f32_e32 v64, v65, v64
	v_mul_f32_e32 v72, 0x3dbcf732, v50
	v_fmac_f32_e32 v69, 0x3f4c4adb, v58
	v_add_f32_e32 v65, v67, v66
	v_fmamk_f32 v66, v56, 0x3e3c28d5, v68
	v_mul_f32_e32 v67, 0x3f3d2fb0, v54
	v_add_f32_e32 v64, v71, v64
	v_mul_f32_e32 v71, 0xbf1a4643, v33
	v_add_f32_e32 v62, v70, v62
	v_fmamk_f32 v70, v32, 0xbf7ee86f, v72
	v_add_f32_e32 v65, v66, v65
	v_fmamk_f32 v66, v55, 0xbf2c7751, v67
	;; [unrolled: 2-line block ×3, first 2 shown]
	v_mul_f32_e32 v74, 0xbe8c1d8e, v41
	v_fmac_f32_e32 v73, 0xbeb8f4ab, v57
	v_add_f32_e32 v63, v70, v63
	v_add_f32_e32 v65, v66, v65
	v_add_f32_e32 v66, v4, v69
	v_fmamk_f32 v69, v61, 0xbf763a35, v74
	v_mul_f32_e32 v70, 0x3f6eb680, v44
	v_add_f32_e32 v64, v73, v64
	v_fmac_f32_e32 v68, 0xbe3c28d5, v56
	v_mul_f32_e32 v73, 0xbe8c1d8e, v50
	v_add_f32_e32 v66, v69, v66
	v_fmamk_f32 v69, v59, 0x3eb8f4ab, v70
	v_mul_f32_e32 v75, 0xbf59a7d5, v47
	v_add_f32_e32 v64, v68, v64
	v_fmamk_f32 v68, v32, 0x3f763a35, v73
	v_mul_f32_e32 v76, 0x3dbcf732, v48
	v_add_f32_e32 v66, v69, v66
	v_fmamk_f32 v69, v58, 0x3f06c442, v75
	v_fmac_f32_e32 v67, 0x3f2c7751, v55
	v_fmac_f32_e32 v71, 0xbf4c4adb, v60
	v_add_f32_e32 v65, v68, v65
	v_fmamk_f32 v68, v57, 0xbf7ee86f, v76
	v_add_f32_e32 v66, v69, v66
	v_mul_f32_e32 v69, 0x3f3d2fb0, v45
	v_fmac_f32_e32 v72, 0x3f7ee86f, v32
	v_add_f32_e32 v71, v4, v71
	v_fmac_f32_e32 v74, 0x3f763a35, v61
	v_add_f32_e32 v64, v67, v64
	v_add_f32_e32 v66, v68, v66
	v_fmamk_f32 v67, v56, 0x3f2c7751, v69
	v_mul_f32_e32 v68, 0xbf7ba420, v54
	v_add_f32_e32 v62, v72, v62
	v_add_f32_e32 v71, v74, v71
	v_fmac_f32_e32 v70, 0xbeb8f4ab, v59
	v_add_f32_e32 v66, v67, v66
	v_fmamk_f32 v67, v55, 0x3e3c28d5, v68
	v_mul_f32_e32 v72, 0xbe8c1d8e, v33
	v_fmac_f32_e32 v75, 0xbf06c442, v58
	v_add_f32_e32 v70, v70, v71
	v_mul_f32_e32 v71, 0xbf59a7d5, v41
	v_add_f32_e32 v66, v67, v66
	v_fmamk_f32 v67, v60, 0x3f763a35, v72
	v_fmac_f32_e32 v76, 0x3f7ee86f, v57
	v_add_f32_e32 v70, v75, v70
	v_fmamk_f32 v74, v61, 0xbf06c442, v71
	v_mul_f32_e32 v75, 0x3f3d2fb0, v44
	v_add_f32_e32 v67, v4, v67
	v_fmac_f32_e32 v73, 0xbf763a35, v32
	v_add_f32_e32 v70, v76, v70
	v_fmac_f32_e32 v69, 0xbf2c7751, v56
	v_mul_f32_e32 v77, 0x3ee437d1, v47
	v_add_f32_e32 v67, v74, v67
	v_fmamk_f32 v74, v59, 0xbf2c7751, v75
	v_add_f32_e32 v64, v73, v64
	v_mul_f32_e32 v73, 0x3ee437d1, v50
	v_add_f32_e32 v69, v69, v70
	v_fmac_f32_e32 v68, 0xbe3c28d5, v55
	v_add_f32_e32 v67, v74, v67
	v_fmamk_f32 v70, v58, 0x3f65296c, v77
	v_mul_f32_e32 v74, 0xbf7ba420, v48
	v_fmamk_f32 v76, v32, 0xbf65296c, v73
	v_add_f32_e32 v68, v68, v69
	v_fmac_f32_e32 v73, 0x3f65296c, v32
	v_fmac_f32_e32 v72, 0xbf763a35, v60
	v_add_f32_e32 v67, v70, v67
	v_fmamk_f32 v69, v57, 0x3e3c28d5, v74
	v_mul_f32_e32 v70, 0x3dbcf732, v45
	v_add_f32_e32 v66, v76, v66
	v_add_f32_e32 v68, v73, v68
	;; [unrolled: 1-line block ×3, first 2 shown]
	v_fmac_f32_e32 v71, 0x3f06c442, v61
	v_add_f32_e32 v67, v69, v67
	v_fmamk_f32 v69, v56, 0xbf7ee86f, v70
	v_mul_f32_e32 v73, 0x3f6eb680, v54
	v_mul_f32_e32 v76, 0x3dbcf732, v33
	v_add_f32_e32 v71, v71, v72
	v_fmac_f32_e32 v75, 0x3f2c7751, v59
	v_add_f32_e32 v67, v69, v67
	v_fmamk_f32 v69, v55, 0x3eb8f4ab, v73
	v_fmamk_f32 v72, v60, 0x3f7ee86f, v76
	v_mul_f32_e32 v78, 0xbf7ba420, v41
	v_add_f32_e32 v71, v75, v71
	v_fmac_f32_e32 v77, 0xbf65296c, v58
	v_add_f32_e32 v67, v69, v67
	v_add_f32_e32 v69, v4, v72
	v_fmamk_f32 v72, v61, 0x3e3c28d5, v78
	v_mul_f32_e32 v75, 0xbe8c1d8e, v44
	v_add_f32_e32 v71, v77, v71
	v_fmac_f32_e32 v74, 0xbe3c28d5, v57
	v_mul_f32_e32 v79, 0x3f6eb680, v47
	v_add_f32_e32 v69, v72, v69
	v_fmamk_f32 v72, v59, 0xbf763a35, v75
	v_fmac_f32_e32 v70, 0x3f7ee86f, v56
	v_add_f32_e32 v71, v74, v71
	v_mul_f32_e32 v80, 0x3ee437d1, v48
	v_mul_f32_e32 v77, 0xbf1a4643, v50
	v_add_f32_e32 v69, v72, v69
	v_fmamk_f32 v72, v58, 0xbeb8f4ab, v79
	v_add_f32_e32 v70, v70, v71
	v_fmac_f32_e32 v73, 0xbeb8f4ab, v55
	v_fmamk_f32 v71, v57, 0x3f65296c, v80
	v_fmamk_f32 v74, v32, 0x3f4c4adb, v77
	v_add_f32_e32 v69, v72, v69
	v_mul_f32_e32 v72, 0xbf59a7d5, v45
	v_add_f32_e32 v70, v73, v70
	v_fmac_f32_e32 v76, 0xbf7ee86f, v60
	v_mul_f32_e32 v73, 0x3ee437d1, v33
	v_add_f32_e32 v69, v71, v69
	v_fmamk_f32 v71, v56, 0x3f06c442, v72
	v_add_f32_e32 v67, v74, v67
	v_add_f32_e32 v74, v4, v76
	v_fmac_f32_e32 v78, 0xbe3c28d5, v61
	v_mul_f32_e32 v76, 0xbf1a4643, v41
	v_add_f32_e32 v69, v71, v69
	v_fmamk_f32 v71, v60, 0x3f65296c, v73
	v_fmac_f32_e32 v75, 0x3f763a35, v59
	v_add_f32_e32 v74, v78, v74
	v_fmamk_f32 v78, v61, 0x3f4c4adb, v76
	v_mul_f32_e32 v81, 0xbf7ba420, v44
	v_add_f32_e32 v71, v4, v71
	v_fmac_f32_e32 v77, 0xbf4c4adb, v32
	v_add_f32_e32 v74, v75, v74
	v_fmac_f32_e32 v79, 0x3eb8f4ab, v58
	v_fmamk_f32 v75, v59, 0xbe3c28d5, v81
	v_add_f32_e32 v71, v78, v71
	v_mul_f32_e32 v78, 0xbe8c1d8e, v47
	v_add_f32_e32 v70, v77, v70
	v_mul_f32_e32 v77, 0xbf1a4643, v54
	v_add_f32_e32 v74, v79, v74
	v_fmac_f32_e32 v80, 0xbf65296c, v57
	v_add_f32_e32 v71, v75, v71
	v_fmamk_f32 v75, v58, 0xbf763a35, v78
	v_mul_f32_e32 v79, 0x3f3d2fb0, v48
	v_fmamk_f32 v82, v55, 0xbf4c4adb, v77
	v_add_f32_e32 v74, v80, v74
	v_fmac_f32_e32 v72, 0xbf06c442, v56
	v_add_f32_e32 v71, v75, v71
	v_fmamk_f32 v75, v57, 0xbf2c7751, v79
	v_mul_f32_e32 v80, 0x3f6eb680, v45
	v_add_f32_e32 v69, v82, v69
	v_mul_f32_e32 v82, 0x3f3d2fb0, v50
	v_add_f32_e32 v72, v72, v74
	v_add_f32_e32 v71, v75, v71
	v_fmamk_f32 v74, v56, 0x3eb8f4ab, v80
	v_fmac_f32_e32 v73, 0xbf65296c, v60
	v_fmamk_f32 v83, v32, 0xbf2c7751, v82
	v_fmac_f32_e32 v76, 0xbf4c4adb, v61
	v_fmac_f32_e32 v77, 0x3f4c4adb, v55
	v_add_f32_e32 v71, v74, v71
	v_mul_f32_e32 v74, 0x3f3d2fb0, v33
	v_add_f32_e32 v73, v4, v73
	v_add_f32_e32 v69, v83, v69
	v_mul_f32_e32 v75, 0x3dbcf732, v54
	v_mul_f32_e32 v83, 0x3dbcf732, v41
	v_fmamk_f32 v84, v60, 0x3f2c7751, v74
	v_fmac_f32_e32 v74, 0xbf2c7751, v60
	v_add_f32_e32 v60, v76, v73
	v_fmac_f32_e32 v81, 0x3e3c28d5, v59
	v_add_f32_e32 v72, v77, v72
	v_fmamk_f32 v77, v55, 0x3f7ee86f, v75
	v_fmamk_f32 v73, v61, 0x3f7ee86f, v83
	v_fmac_f32_e32 v83, 0xbf7ee86f, v61
	v_add_f32_e32 v61, v4, v74
	v_mul_f32_e32 v74, 0xbf1a4643, v44
	v_add_f32_e32 v60, v81, v60
	v_fmac_f32_e32 v78, 0x3f763a35, v58
	v_add_f32_e32 v71, v77, v71
	v_add_f32_e32 v77, v4, v84
	v_fmamk_f32 v76, v59, 0x3f4c4adb, v74
	v_fmac_f32_e32 v74, 0xbf4c4adb, v59
	v_add_f32_e32 v59, v78, v60
	v_add_f32_e32 v78, v4, v39
	;; [unrolled: 1-line block ×4, first 2 shown]
	v_mul_f32_e32 v60, 0xbf7ba420, v47
	v_mul_f32_e32 v33, 0x3f6eb680, v33
	v_add_f32_e32 v77, v78, v37
	v_add_f32_e32 v73, v76, v73
	;; [unrolled: 1-line block ×3, first 2 shown]
	v_fmamk_f32 v74, v58, 0x3e3c28d5, v60
	v_fmac_f32_e32 v60, 0xbe3c28d5, v58
	v_add_f32_e32 v76, v77, v35
	v_mul_f32_e32 v58, 0xbf59a7d5, v48
	v_fmac_f32_e32 v79, 0x3f2c7751, v57
	v_mul_f32_e32 v41, 0x3f3d2fb0, v41
	v_add_f32_e32 v60, v60, v61
	v_add_f32_e32 v76, v76, v30
	v_fmamk_f32 v61, v57, 0xbf06c442, v58
	v_fmac_f32_e32 v58, 0x3f06c442, v57
	v_add_f32_e32 v33, v34, v33
	v_add_f32_e32 v41, v43, v41
	;; [unrolled: 1-line block ×4, first 2 shown]
	v_fmac_f32_e32 v80, 0xbeb8f4ab, v56
	v_add_f32_e32 v4, v4, v33
	v_mul_f32_e32 v33, 0x3ee437d1, v44
	v_add_f32_e32 v43, v57, v12
	v_mul_f32_e32 v44, 0xbe8c1d8e, v45
	v_add_f32_e32 v57, v58, v60
	v_add_f32_e32 v4, v41, v4
	;; [unrolled: 1-line block ×4, first 2 shown]
	v_mul_f32_e32 v46, 0x3dbcf732, v47
	v_mul_f32_e32 v47, 0xbe8c1d8e, v48
	v_fmamk_f32 v43, v56, 0xbf763a35, v44
	v_add_f32_e32 v4, v33, v4
	v_add_f32_e32 v41, v41, v16
	;; [unrolled: 1-line block ×3, first 2 shown]
	v_fmac_f32_e32 v44, 0x3f763a35, v56
	v_mul_f32_e32 v48, 0x3ee437d1, v54
	v_mul_f32_e32 v45, 0xbf1a4643, v45
	v_add_f32_e32 v41, v41, v14
	v_add_f32_e32 v4, v33, v4
	;; [unrolled: 1-line block ×7, first 2 shown]
	v_fmamk_f32 v52, v55, 0xbf65296c, v48
	v_fmac_f32_e32 v48, 0x3f65296c, v55
	v_add_f32_e32 v46, v61, v59
	v_add_f32_e32 v33, v33, v8
	;; [unrolled: 1-line block ×4, first 2 shown]
	v_mul_f32_e32 v45, 0xbf59a7d5, v54
	v_fmac_f32_e32 v75, 0xbf7ee86f, v55
	v_add_f32_e32 v33, v33, v28
	v_mul_f32_e32 v47, 0xbf59a7d5, v50
	v_add_f32_e32 v4, v41, v4
	v_add_f32_e32 v41, v42, v45
	v_add_f32_e32 v42, v48, v44
	v_add_f32_e32 v33, v33, v26
	v_mul_f32_e32 v44, 0xbf7ba420, v50
	v_mul_f32_e32 v45, 0x3f6eb680, v50
	v_add_f32_e32 v43, v43, v46
	v_add_f32_e32 v4, v41, v4
	;; [unrolled: 1-line block ×5, first 2 shown]
	v_fmamk_f32 v53, v32, 0x3f06c442, v47
	v_fmac_f32_e32 v47, 0xbf06c442, v32
	v_add_f32_e32 v33, v33, v20
	v_fmamk_f32 v44, v32, 0xbeb8f4ab, v45
	v_fmac_f32_e32 v45, 0x3eb8f4ab, v32
	v_fmac_f32_e32 v82, 0x3f2c7751, v32
	v_add_f32_e32 v32, v52, v43
	v_add_f32_e32 v4, v41, v4
	v_add_f32_e32 v33, v33, v22
	v_mad_u32_u24 v41, 0x44, v0, 0
	v_add_f32_e32 v34, v47, v34
	v_add_f32_e32 v42, v45, v42
	;; [unrolled: 1-line block ×5, first 2 shown]
	ds_write2_b32 v41, v33, v4 offset1:1
	ds_write2_b32 v41, v42, v34 offset0:2 offset1:3
	ds_write2_b32 v41, v43, v70 offset0:4 offset1:5
	ds_write2_b32 v41, v68, v64 offset0:6 offset1:7
	ds_write2_b32 v41, v62, v63 offset0:8 offset1:9
	ds_write2_b32 v41, v65, v66 offset0:10 offset1:11
	ds_write2_b32 v41, v67, v69 offset0:12 offset1:13
	ds_write2_b32 v41, v45, v32 offset0:14 offset1:15
	ds_write_b32 v41, v1 offset:64
.LBB0_13:
	s_or_b32 exec_lo, exec_lo, s1
	v_sub_f32_e32 v70, v39, v22
	v_add_f32_e32 v67, v40, v23
	v_sub_f32_e32 v65, v37, v20
	v_add_f32_e32 v64, v38, v21
	v_sub_f32_e32 v62, v35, v24
	v_mul_f32_e32 v69, 0xbeb8f4ab, v70
	v_add_f32_e32 v61, v36, v25
	v_mul_f32_e32 v68, 0xbf2c7751, v65
	v_sub_f32_e32 v57, v30, v26
	v_sub_f32_e32 v54, v18, v28
	v_fmamk_f32 v4, v67, 0x3f6eb680, v69
	v_mul_f32_e32 v66, 0xbf65296c, v62
	v_fmamk_f32 v18, v64, 0x3f3d2fb0, v68
	v_add_f32_e32 v56, v31, v27
	v_sub_f32_e32 v30, v12, v8
	v_add_f32_e32 v4, v5, v4
	v_mul_f32_e32 v63, 0xbf7ee86f, v57
	v_fmamk_f32 v8, v61, 0x3ee437d1, v66
	v_add_f32_e32 v53, v19, v29
	v_sub_f32_e32 v24, v10, v6
	v_add_f32_e32 v4, v18, v4
	v_mul_f32_e32 v60, 0xbf763a35, v54
	v_fmamk_f32 v6, v56, 0x3dbcf732, v63
	v_lshl_add_u32 v58, v0, 2, 0
	v_add_f32_e32 v28, v13, v9
	v_add_f32_e32 v8, v8, v4
	v_fmamk_f32 v10, v53, 0xbe8c1d8e, v60
	v_sub_f32_e32 v4, v16, v14
	v_add_nc_u32_e32 v16, 0x1200, v58
	v_add_nc_u32_e32 v14, 0xe00, v58
	v_add_f32_e32 v6, v6, v8
	v_add_nc_u32_e32 v18, 0x1600, v58
	v_mul_f32_e32 v55, 0xbf4c4adb, v30
	v_add_nc_u32_e32 v12, 0xa00, v58
	v_add_nc_u32_e32 v8, 0x1800, v58
	v_add_f32_e32 v26, v10, v6
	v_add_nc_u32_e32 v10, 0x600, v58
	v_add_nc_u32_e32 v6, 0x200, v58
	s_waitcnt lgkmcnt(0)
	s_barrier
	buffer_gl0_inv
	ds_read2_b32 v[34:35], v58 offset1:119
	ds_read2_b32 v[45:46], v14 offset0:56 offset1:175
	ds_read2_b32 v[32:33], v6 offset0:110 offset1:229
	;; [unrolled: 1-line block ×7, first 2 shown]
	v_add_f32_e32 v22, v11, v7
	v_mul_f32_e32 v39, 0xbf06c442, v24
	v_fmamk_f32 v20, v28, 0xbf1a4643, v55
	s_waitcnt lgkmcnt(0)
	s_barrier
	buffer_gl0_inv
	v_fmamk_f32 v59, v22, 0xbf59a7d5, v39
	v_add_f32_e32 v37, v20, v26
	v_add_f32_e32 v20, v17, v15
	v_mul_f32_e32 v26, 0xbe3c28d5, v4
	v_add_f32_e32 v37, v59, v37
	v_fmamk_f32 v59, v20, 0xbf7ba420, v26
	v_add_f32_e32 v59, v59, v37
	s_and_saveexec_b32 s1, s0
	s_cbranch_execz .LBB0_15
; %bb.14:
	v_add_f32_e32 v37, v5, v40
	v_mul_f32_e32 v40, 0x3f6eb680, v67
	v_mul_f32_e32 v77, 0xbf65296c, v70
	;; [unrolled: 1-line block ×4, first 2 shown]
	v_add_f32_e32 v38, v37, v38
	v_sub_f32_e32 v40, v40, v69
	v_fma_f32 v69, 0x3ee437d1, v67, -v77
	v_fmac_f32_e32 v77, 0x3ee437d1, v67
	v_fma_f32 v84, 0xbe8c1d8e, v67, -v79
	v_add_f32_e32 v36, v38, v36
	v_mul_f32_e32 v38, 0xbf2c7751, v70
	v_mul_f32_e32 v78, 0xbf7ee86f, v70
	;; [unrolled: 1-line block ×4, first 2 shown]
	v_add_f32_e32 v31, v36, v31
	v_mul_f32_e32 v36, 0xbf4c4adb, v70
	v_mul_f32_e32 v70, 0xbe3c28d5, v70
	;; [unrolled: 1-line block ×4, first 2 shown]
	v_add_f32_e32 v19, v31, v19
	v_mul_f32_e32 v31, 0xbf4c4adb, v65
	v_mul_f32_e32 v72, 0x3ee437d1, v61
	v_fmac_f32_e32 v79, 0xbe8c1d8e, v67
	v_fma_f32 v85, 0xbf59a7d5, v67, -v80
	v_add_f32_e32 v13, v19, v13
	v_fma_f32 v19, 0x3f3d2fb0, v67, -v38
	v_fmac_f32_e32 v38, 0x3f3d2fb0, v67
	v_fmac_f32_e32 v80, 0xbf59a7d5, v67
	v_mul_f32_e32 v73, 0x3dbcf732, v56
	v_add_f32_e32 v11, v13, v11
	v_fma_f32 v13, 0x3dbcf732, v67, -v78
	v_fmac_f32_e32 v78, 0x3dbcf732, v67
	v_add_f32_e32 v19, v5, v19
	v_add_f32_e32 v38, v5, v38
	;; [unrolled: 1-line block ×3, first 2 shown]
	v_fma_f32 v17, 0xbf1a4643, v67, -v36
	v_fmac_f32_e32 v36, 0xbf1a4643, v67
	v_add_f32_e32 v13, v5, v13
	v_mul_f32_e32 v74, 0xbe8c1d8e, v53
	v_add_f32_e32 v11, v11, v15
	v_fma_f32 v15, 0xbf7ba420, v67, -v70
	v_add_f32_e32 v36, v5, v36
	v_fmac_f32_e32 v70, 0xbf7ba420, v67
	v_sub_f32_e32 v67, v71, v68
	v_add_f32_e32 v7, v11, v7
	v_fma_f32 v11, 0xbf1a4643, v64, -v31
	v_fmac_f32_e32 v31, 0xbf1a4643, v64
	v_add_f32_e32 v17, v5, v17
	v_add_f32_e32 v15, v5, v15
	;; [unrolled: 1-line block ×5, first 2 shown]
	v_fma_f32 v68, 0x3dbcf732, v64, -v81
	v_fmac_f32_e32 v81, 0x3dbcf732, v64
	v_add_f32_e32 v7, v7, v29
	v_add_f32_e32 v29, v5, v69
	;; [unrolled: 1-line block ×8, first 2 shown]
	v_fma_f32 v29, 0xbf59a7d5, v64, -v83
	v_add_f32_e32 v9, v67, v9
	v_add_f32_e32 v7, v7, v25
	v_add_f32_e32 v25, v5, v85
	v_add_f32_e32 v5, v5, v70
	v_add_f32_e32 v27, v29, v27
	v_mul_f32_e32 v29, 0x3f65296c, v65
	v_add_f32_e32 v7, v7, v21
	v_fma_f32 v71, 0xbf7ba420, v64, -v82
	v_fmac_f32_e32 v82, 0xbf7ba420, v64
	v_add_f32_e32 v19, v68, v19
	v_add_f32_e32 v21, v81, v38
	;; [unrolled: 1-line block ×4, first 2 shown]
	v_mul_f32_e32 v31, 0x3f763a35, v65
	v_mul_f32_e32 v65, 0x3eb8f4ab, v65
	v_fmac_f32_e32 v83, 0xbf59a7d5, v64
	v_fma_f32 v68, 0x3ee437d1, v64, -v29
	v_fmac_f32_e32 v29, 0x3ee437d1, v64
	v_fma_f32 v40, 0xbe8c1d8e, v64, -v31
	v_fmac_f32_e32 v31, 0xbe8c1d8e, v64
	v_add_f32_e32 v38, v82, v69
	v_add_f32_e32 v13, v71, v13
	;; [unrolled: 1-line block ×5, first 2 shown]
	v_fma_f32 v36, 0x3f6eb680, v64, -v65
	v_mul_f32_e32 v40, 0xbf4c4adb, v62
	v_fmac_f32_e32 v65, 0x3f6eb680, v64
	v_add_f32_e32 v67, v83, v77
	v_mul_f32_e32 v75, 0xbf1a4643, v28
	v_add_f32_e32 v15, v36, v15
	v_sub_f32_e32 v36, v72, v66
	v_fma_f32 v64, 0xbf1a4643, v61, -v40
	v_add_f32_e32 v5, v65, v5
	v_mul_f32_e32 v65, 0x3e3c28d5, v62
	v_fmac_f32_e32 v40, 0xbf1a4643, v61
	v_add_f32_e32 v9, v36, v9
	v_mul_f32_e32 v36, 0x3f763a35, v62
	v_add_f32_e32 v19, v64, v19
	v_fma_f32 v64, 0xbf7ba420, v61, -v65
	v_add_f32_e32 v21, v40, v21
	v_fmac_f32_e32 v65, 0xbf7ba420, v61
	v_mul_f32_e32 v40, 0x3f2c7751, v62
	v_fma_f32 v66, 0xbe8c1d8e, v61, -v36
	v_fmac_f32_e32 v36, 0xbe8c1d8e, v61
	v_add_f32_e32 v11, v64, v11
	v_add_f32_e32 v23, v65, v23
	v_fma_f32 v64, 0x3f3d2fb0, v61, -v40
	v_mul_f32_e32 v65, 0xbeb8f4ab, v62
	v_add_f32_e32 v36, v36, v38
	v_mul_f32_e32 v38, 0xbf7ee86f, v62
	v_add_f32_e32 v13, v66, v13
	v_add_f32_e32 v27, v64, v27
	v_fma_f32 v64, 0x3f6eb680, v61, -v65
	v_fmac_f32_e32 v65, 0x3f6eb680, v61
	v_mul_f32_e32 v62, 0xbf06c442, v62
	v_fma_f32 v66, 0x3dbcf732, v61, -v38
	v_fmac_f32_e32 v38, 0x3dbcf732, v61
	v_add_f32_e32 v17, v64, v17
	v_add_f32_e32 v31, v65, v31
	v_fma_f32 v64, 0xbf59a7d5, v61, -v62
	v_mul_f32_e32 v65, 0xbe3c28d5, v57
	v_fmac_f32_e32 v62, 0xbf59a7d5, v61
	v_add_f32_e32 v29, v38, v29
	v_sub_f32_e32 v38, v73, v63
	v_fmac_f32_e32 v40, 0x3f3d2fb0, v61
	v_fma_f32 v61, 0xbf7ba420, v56, -v65
	v_add_f32_e32 v5, v62, v5
	v_mul_f32_e32 v62, 0x3f763a35, v57
	v_add_f32_e32 v9, v38, v9
	v_mul_f32_e32 v38, 0x3eb8f4ab, v57
	v_add_f32_e32 v15, v64, v15
	v_add_f32_e32 v19, v61, v19
	v_fma_f32 v61, 0xbe8c1d8e, v56, -v62
	v_fmac_f32_e32 v62, 0xbe8c1d8e, v56
	v_mul_f32_e32 v63, 0xbf65296c, v57
	v_fma_f32 v64, 0x3f6eb680, v56, -v38
	v_fmac_f32_e32 v38, 0x3f6eb680, v56
	v_add_f32_e32 v40, v40, v67
	v_add_f32_e32 v11, v61, v11
	;; [unrolled: 1-line block ×3, first 2 shown]
	v_fma_f32 v61, 0x3ee437d1, v56, -v63
	v_mul_f32_e32 v62, 0xbf06c442, v57
	v_add_f32_e32 v36, v38, v36
	v_fmac_f32_e32 v63, 0x3ee437d1, v56
	v_mul_f32_e32 v38, 0x3f4c4adb, v57
	v_add_f32_e32 v27, v61, v27
	v_fma_f32 v61, 0xbf59a7d5, v56, -v62
	v_fmac_f32_e32 v62, 0xbf59a7d5, v56
	v_add_f32_e32 v40, v63, v40
	v_mul_f32_e32 v57, 0x3f2c7751, v57
	v_fma_f32 v63, 0xbf1a4643, v56, -v38
	v_fmac_f32_e32 v38, 0xbf1a4643, v56
	v_add_f32_e32 v17, v61, v17
	v_add_f32_e32 v31, v62, v31
	v_fma_f32 v61, 0x3f3d2fb0, v56, -v57
	v_mul_f32_e32 v62, 0x3f06c442, v54
	v_fmac_f32_e32 v57, 0x3f3d2fb0, v56
	v_add_f32_e32 v29, v38, v29
	v_sub_f32_e32 v38, v74, v60
	v_fmac_f32_e32 v65, 0xbf7ba420, v56
	v_fma_f32 v56, 0xbf59a7d5, v53, -v62
	v_add_f32_e32 v5, v57, v5
	v_mul_f32_e32 v57, 0x3f2c7751, v54
	v_add_f32_e32 v9, v38, v9
	v_mul_f32_e32 v38, 0xbf65296c, v54
	v_add_f32_e32 v15, v61, v15
	v_add_f32_e32 v19, v56, v19
	v_fma_f32 v56, 0x3f3d2fb0, v53, -v57
	v_fmac_f32_e32 v57, 0x3f3d2fb0, v53
	v_mul_f32_e32 v60, 0xbe3c28d5, v54
	v_fma_f32 v61, 0x3ee437d1, v53, -v38
	v_fmac_f32_e32 v38, 0x3ee437d1, v53
	v_add_f32_e32 v11, v56, v11
	v_add_f32_e32 v23, v57, v23
	v_fma_f32 v56, 0xbf7ba420, v53, -v60
	v_mul_f32_e32 v57, 0x3f7ee86f, v54
	v_add_f32_e32 v36, v38, v36
	v_fmac_f32_e32 v60, 0xbf7ba420, v53
	v_mul_f32_e32 v38, 0xbeb8f4ab, v54
	v_add_f32_e32 v27, v56, v27
	v_fma_f32 v56, 0x3dbcf732, v53, -v57
	v_mul_f32_e32 v54, 0xbf4c4adb, v54
	v_add_f32_e32 v40, v60, v40
	v_fma_f32 v60, 0x3f6eb680, v53, -v38
	v_fmac_f32_e32 v38, 0x3f6eb680, v53
	v_add_f32_e32 v21, v65, v21
	v_fmac_f32_e32 v62, 0xbf59a7d5, v53
	v_fmac_f32_e32 v57, 0x3dbcf732, v53
	v_add_f32_e32 v17, v56, v17
	v_fma_f32 v56, 0xbf1a4643, v53, -v54
	v_fmac_f32_e32 v54, 0xbf1a4643, v53
	v_mul_f32_e32 v53, 0x3f763a35, v30
	v_add_f32_e32 v29, v38, v29
	v_sub_f32_e32 v38, v75, v55
	v_add_f32_e32 v13, v64, v13
	v_add_f32_e32 v21, v62, v21
	;; [unrolled: 1-line block ×3, first 2 shown]
	v_fma_f32 v54, 0xbe8c1d8e, v28, -v53
	v_mul_f32_e32 v55, 0xbeb8f4ab, v30
	v_fmac_f32_e32 v53, 0xbe8c1d8e, v28
	v_add_f32_e32 v9, v38, v9
	v_mul_f32_e32 v38, 0xbf06c442, v30
	v_add_f32_e32 v13, v61, v13
	v_add_f32_e32 v15, v56, v15
	v_add_f32_e32 v19, v54, v19
	v_fma_f32 v54, 0x3f6eb680, v28, -v55
	v_add_f32_e32 v21, v53, v21
	v_fma_f32 v53, 0xbf59a7d5, v28, -v38
	v_mul_f32_e32 v56, 0x3f7ee86f, v30
	v_fmac_f32_e32 v38, 0xbf59a7d5, v28
	v_add_f32_e32 v11, v54, v11
	v_mul_f32_e32 v54, 0xbf2c7751, v30
	v_add_f32_e32 v13, v53, v13
	v_fma_f32 v53, 0x3dbcf732, v28, -v56
	v_add_f32_e32 v31, v57, v31
	v_fmac_f32_e32 v55, 0x3f6eb680, v28
	v_add_f32_e32 v36, v38, v36
	v_mul_f32_e32 v38, 0xbe3c28d5, v30
	v_add_f32_e32 v27, v53, v27
	v_fma_f32 v53, 0x3f3d2fb0, v28, -v54
	v_fmac_f32_e32 v54, 0x3f3d2fb0, v28
	v_mul_f32_e32 v30, 0x3f65296c, v30
	v_add_f32_e32 v23, v55, v23
	v_fma_f32 v55, 0xbf7ba420, v28, -v38
	v_add_f32_e32 v17, v53, v17
	v_add_f32_e32 v31, v54, v31
	v_fmac_f32_e32 v38, 0xbf7ba420, v28
	v_fma_f32 v53, 0x3ee437d1, v28, -v30
	v_mul_f32_e32 v54, 0x3f65296c, v24
	v_fmac_f32_e32 v30, 0x3ee437d1, v28
	v_mul_f32_e32 v76, 0xbf59a7d5, v22
	v_fmac_f32_e32 v56, 0x3dbcf732, v28
	v_add_f32_e32 v28, v38, v29
	v_fma_f32 v38, 0x3ee437d1, v22, -v54
	v_add_f32_e32 v5, v30, v5
	v_mul_f32_e32 v30, 0xbf7ee86f, v24
	v_sub_f32_e32 v29, v76, v39
	v_mul_f32_e32 v39, 0xbeb8f4ab, v24
	v_add_f32_e32 v19, v38, v19
	v_add_f32_e32 v15, v53, v15
	v_fma_f32 v38, 0x3dbcf732, v22, -v30
	v_fmac_f32_e32 v30, 0x3dbcf732, v22
	v_add_f32_e32 v9, v29, v9
	v_mul_f32_e32 v29, 0x3f4c4adb, v24
	v_add_f32_e32 v40, v56, v40
	v_add_f32_e32 v11, v38, v11
	;; [unrolled: 1-line block ×3, first 2 shown]
	v_fma_f32 v30, 0x3f6eb680, v22, -v39
	v_fma_f32 v53, 0xbf1a4643, v22, -v29
	v_fmac_f32_e32 v29, 0xbf1a4643, v22
	v_mul_f32_e32 v38, 0xbe3c28d5, v24
	v_fmac_f32_e32 v39, 0x3f6eb680, v22
	v_add_f32_e32 v27, v30, v27
	v_mul_f32_e32 v30, 0x3f2c7751, v24
	v_add_f32_e32 v29, v29, v36
	v_fma_f32 v36, 0xbf7ba420, v22, -v38
	v_fmac_f32_e32 v38, 0xbf7ba420, v22
	v_mul_f32_e32 v37, 0xbf7ba420, v20
	v_add_f32_e32 v25, v68, v25
	v_add_f32_e32 v39, v39, v40
	v_mul_f32_e32 v24, 0xbf763a35, v24
	v_fma_f32 v40, 0x3f3d2fb0, v22, -v30
	v_fmac_f32_e32 v30, 0x3f3d2fb0, v22
	v_add_f32_e32 v31, v38, v31
	v_mul_f32_e32 v38, 0x3eb8f4ab, v4
	v_add_f32_e32 v25, v66, v25
	v_fmac_f32_e32 v54, 0x3ee437d1, v22
	v_add_f32_e32 v17, v36, v17
	v_fma_f32 v36, 0xbe8c1d8e, v22, -v24
	v_add_f32_e32 v28, v30, v28
	v_fmac_f32_e32 v24, 0xbe8c1d8e, v22
	v_sub_f32_e32 v22, v37, v26
	v_mul_f32_e32 v30, 0xbf06c442, v4
	v_fma_f32 v26, 0x3f6eb680, v20, -v38
	v_add_f32_e32 v25, v63, v25
	v_add_f32_e32 v5, v24, v5
	;; [unrolled: 1-line block ×3, first 2 shown]
	v_fma_f32 v22, 0xbf59a7d5, v20, -v30
	v_mul_f32_e32 v24, 0x3f2c7751, v4
	v_add_f32_e32 v19, v26, v19
	v_fmac_f32_e32 v30, 0xbf59a7d5, v20
	v_mul_f32_e32 v26, 0xbf4c4adb, v4
	v_add_f32_e32 v25, v60, v25
	v_add_f32_e32 v13, v53, v13
	;; [unrolled: 1-line block ×3, first 2 shown]
	v_fma_f32 v22, 0x3f3d2fb0, v20, -v24
	v_fmac_f32_e32 v24, 0x3f3d2fb0, v20
	v_add_f32_e32 v15, v36, v15
	v_add_f32_e32 v23, v30, v23
	v_fma_f32 v30, 0xbf1a4643, v20, -v26
	v_mul_f32_e32 v36, 0x3f65296c, v4
	v_add_f32_e32 v25, v55, v25
	v_add_f32_e32 v13, v22, v13
	;; [unrolled: 1-line block ×3, first 2 shown]
	v_mul_f32_e32 v29, 0xbf763a35, v4
	v_add_f32_e32 v24, v30, v27
	v_fma_f32 v27, 0x3ee437d1, v20, -v36
	v_fmac_f32_e32 v36, 0x3ee437d1, v20
	v_mul_f32_e32 v4, 0x3f7ee86f, v4
	v_add_f32_e32 v25, v40, v25
	v_fma_f32 v30, 0xbe8c1d8e, v20, -v29
	v_add_f32_e32 v17, v27, v17
	v_add_f32_e32 v27, v36, v31
	v_fma_f32 v31, 0x3dbcf732, v20, -v4
	v_fmac_f32_e32 v4, 0x3dbcf732, v20
	v_add_f32_e32 v21, v54, v21
	v_fmac_f32_e32 v38, 0x3f6eb680, v20
	v_fmac_f32_e32 v26, 0xbf1a4643, v20
	;; [unrolled: 1-line block ×3, first 2 shown]
	v_lshl_add_u32 v20, v0, 6, v58
	v_add_f32_e32 v25, v30, v25
	v_add_f32_e32 v15, v31, v15
	;; [unrolled: 1-line block ×6, first 2 shown]
	ds_write2_b32 v20, v7, v9 offset1:1
	ds_write2_b32 v20, v19, v11 offset0:2 offset1:3
	ds_write2_b32 v20, v13, v24 offset0:4 offset1:5
	;; [unrolled: 1-line block ×7, first 2 shown]
	ds_write_b32 v20, v59 offset:64
.LBB0_15:
	s_or_b32 exec_lo, exec_lo, s1
	v_add_nc_u32_e32 v7, 0x1dc, v0
	v_mov_b32_e32 v9, 0xf0f1
	v_add_nc_u32_e32 v11, 0x253, v0
	v_mov_b32_e32 v40, 3
	v_add_nc_u32_e32 v70, 0x2ca, v0
	s_waitcnt lgkmcnt(0)
	v_mul_u32_u24_sdwa v13, v7, v9 dst_sel:DWORD dst_unused:UNUSED_PAD src0_sel:WORD_0 src1_sel:DWORD
	v_mul_u32_u24_sdwa v15, v11, v9 dst_sel:DWORD dst_unused:UNUSED_PAD src0_sel:WORD_0 src1_sel:DWORD
	s_barrier
	v_mul_u32_u24_sdwa v73, v70, v9 dst_sel:DWORD dst_unused:UNUSED_PAD src0_sel:WORD_0 src1_sel:DWORD
	buffer_gl0_inv
	v_lshrrev_b32_e32 v17, 20, v13
	v_lshrrev_b32_e32 v31, 20, v15
	v_add_nc_u32_e32 v78, 0x341, v0
	v_lshrrev_b32_e32 v75, 20, v73
	v_add_nc_u16 v62, v0, 0x77
	v_mul_lo_u16 v4, v17, 17
	v_mul_lo_u16 v5, v31, 17
	v_mul_u32_u24_sdwa v79, v78, v9 dst_sel:DWORD dst_unused:UNUSED_PAD src0_sel:WORD_0 src1_sel:DWORD
	v_mul_lo_u16 v22, v75, 17
	v_and_b32_e32 v63, 0xff, v62
	v_sub_nc_u16 v57, v7, v4
	v_and_b32_e32 v4, 0xff, v0
	v_sub_nc_u16 v71, v11, v5
	v_sub_nc_u16 v77, v70, v22
	v_add_nc_u32_e32 v61, 0xee, v0
	v_lshlrev_b32_sdwa v5, v40, v57 dst_sel:DWORD dst_unused:UNUSED_PAD src0_sel:DWORD src1_sel:WORD_0
	v_mul_lo_u16 v72, 0xf1, v4
	v_lshlrev_b32_sdwa v19, v40, v71 dst_sel:DWORD dst_unused:UNUSED_PAD src0_sel:DWORD src1_sel:WORD_0
	v_lshlrev_b32_sdwa v23, v40, v77 dst_sel:DWORD dst_unused:UNUSED_PAD src0_sel:DWORD src1_sel:WORD_0
	v_add_nc_u32_e32 v60, 0x165, v0
	global_load_dwordx2 v[4:5], v5, s[8:9]
	v_lshrrev_b16 v74, 12, v72
	global_load_dwordx2 v[19:20], v19, s[8:9]
	v_lshrrev_b32_e32 v80, 20, v79
	v_mul_lo_u16 v81, 0xf1, v63
	v_mul_u32_u24_sdwa v83, v61, v9 dst_sel:DWORD dst_unused:UNUSED_PAD src0_sel:WORD_0 src1_sel:DWORD
	v_mul_lo_u16 v21, v74, 17
	v_mul_u32_u24_sdwa v9, v60, v9 dst_sel:DWORD dst_unused:UNUSED_PAD src0_sel:WORD_0 src1_sel:DWORD
	v_mul_lo_u16 v25, v80, 17
	v_lshrrev_b16 v84, 12, v81
	v_lshrrev_b32_e32 v85, 20, v83
	v_sub_nc_u16 v76, v0, v21
	v_lshrrev_b32_e32 v86, 20, v9
	v_sub_nc_u16 v82, v78, v25
	v_mul_lo_u16 v27, v84, 17
	v_mul_lo_u16 v28, v85, 17
	v_lshlrev_b32_sdwa v21, v40, v76 dst_sel:DWORD dst_unused:UNUSED_PAD src0_sel:DWORD src1_sel:BYTE_0
	v_mul_lo_u16 v29, v86, 17
	v_lshlrev_b32_sdwa v25, v40, v82 dst_sel:DWORD dst_unused:UNUSED_PAD src0_sel:DWORD src1_sel:WORD_0
	s_clause 0x1
	global_load_dwordx2 v[21:22], v21, s[8:9]
	global_load_dwordx2 v[23:24], v23, s[8:9]
	v_sub_nc_u16 v87, v62, v27
	v_sub_nc_u16 v88, v61, v28
	;; [unrolled: 1-line block ×3, first 2 shown]
	global_load_dwordx2 v[25:26], v25, s[8:9]
	v_mov_b32_e32 v92, 0x88
	v_lshlrev_b32_sdwa v27, v40, v87 dst_sel:DWORD dst_unused:UNUSED_PAD src0_sel:DWORD src1_sel:BYTE_0
	v_lshlrev_b32_sdwa v29, v40, v88 dst_sel:DWORD dst_unused:UNUSED_PAD src0_sel:DWORD src1_sel:WORD_0
	v_lshlrev_b32_sdwa v36, v40, v89 dst_sel:DWORD dst_unused:UNUSED_PAD src0_sel:DWORD src1_sel:WORD_0
	s_clause 0x2
	global_load_dwordx2 v[27:28], v27, s[8:9]
	global_load_dwordx2 v[29:30], v29, s[8:9]
	;; [unrolled: 1-line block ×3, first 2 shown]
	ds_read2_b32 v[38:39], v18 offset0:20 offset1:139
	ds_read2_b32 v[53:54], v58 offset1:119
	ds_read2_b32 v[55:56], v14 offset0:56 offset1:175
	ds_read2_b32 v[64:65], v6 offset0:110 offset1:229
	;; [unrolled: 1-line block ×3, first 2 shown]
	v_lshrrev_b32_e32 v96, 21, v73
	v_lshrrev_b32_e32 v13, 21, v13
	;; [unrolled: 1-line block ×5, first 2 shown]
	v_mov_b32_e32 v93, 2
	v_lshrrev_b16 v94, 13, v72
	v_lshrrev_b32_e32 v9, 21, v9
	ds_read2_b32 v[68:69], v10 offset0:92 offset1:211
	v_mul_u32_u24_e32 v72, 0x88, v86
	v_mul_u32_u24_e32 v17, 0x88, v17
	;; [unrolled: 1-line block ×3, first 2 shown]
	v_lshlrev_b32_sdwa v57, v93, v57 dst_sel:DWORD dst_unused:UNUSED_PAD src0_sel:DWORD src1_sel:WORD_0
	v_lshlrev_b32_sdwa v71, v93, v71 dst_sel:DWORD dst_unused:UNUSED_PAD src0_sel:DWORD src1_sel:WORD_0
	;; [unrolled: 1-line block ×4, first 2 shown]
	v_cmp_gt_u32_e64 s0, 34, v0
	v_add3_u32 v17, 0, v17, v57
	v_add3_u32 v31, 0, v31, v71
	s_waitcnt vmcnt(7) lgkmcnt(5)
	v_mul_f32_e32 v90, v38, v5
	v_mul_f32_e32 v5, v51, v5
	s_waitcnt vmcnt(6)
	v_mul_f32_e32 v91, v39, v20
	v_mul_f32_e32 v20, v52, v20
	v_fmac_f32_e32 v90, v51, v4
	v_fma_f32 v38, v38, v4, -v5
	ds_read2_b32 v[4:5], v8 offset0:130 offset1:249
	v_fmac_f32_e32 v91, v52, v19
	v_fma_f32 v19, v39, v19, -v20
	v_mul_u32_u24_sdwa v20, v74, v92 dst_sel:DWORD dst_unused:UNUSED_PAD src0_sel:WORD_0 src1_sel:DWORD
	ds_read2_b32 v[51:52], v12 offset0:74 offset1:193
	v_mul_u32_u24_e32 v39, 0x88, v85
	s_waitcnt vmcnt(0) lgkmcnt(0)
	v_sub_f32_e32 v19, v69, v19
	s_barrier
	buffer_gl0_inv
	v_mul_f32_e32 v73, v55, v22
	v_mul_f32_e32 v22, v45, v22
	v_fmac_f32_e32 v73, v45, v21
	v_fma_f32 v21, v55, v21, -v22
	v_mul_f32_e32 v74, v4, v24
	v_mul_f32_e32 v22, v49, v24
	v_mul_u32_u24_e32 v45, 0x88, v80
	v_mul_lo_u16 v80, v96, 34
	v_mul_lo_u16 v55, v94, 34
	v_fmac_f32_e32 v74, v49, v23
	v_fma_f32 v4, v4, v23, -v22
	v_mul_lo_u16 v22, v13, 34
	v_mul_lo_u16 v23, v15, 34
	v_lshrrev_b16 v49, 13, v81
	v_sub_nc_u16 v80, v70, v80
	v_mul_lo_u16 v70, v9, 34
	v_sub_nc_u16 v7, v7, v22
	v_mul_lo_u16 v22, v79, 34
	;; [unrolled: 2-line block ×3, first 2 shown]
	v_mul_u32_u24_e32 v24, 0x88, v75
	v_mul_u32_u24_sdwa v75, v84, v92 dst_sel:DWORD dst_unused:UNUSED_PAD src0_sel:WORD_0 src1_sel:DWORD
	v_sub_nc_u16 v78, v78, v22
	v_mul_lo_u16 v22, v49, 34
	v_sub_nc_u16 v81, v61, v23
	v_lshlrev_b32_sdwa v23, v93, v76 dst_sel:DWORD dst_unused:UNUSED_PAD src0_sel:DWORD src1_sel:BYTE_0
	v_sub_nc_u16 v55, v0, v55
	v_sub_nc_u16 v92, v60, v70
	v_lshlrev_b32_sdwa v70, v93, v88 dst_sel:DWORD dst_unused:UNUSED_PAD src0_sel:DWORD src1_sel:WORD_0
	v_lshlrev_b32_sdwa v76, v93, v89 dst_sel:DWORD dst_unused:UNUSED_PAD src0_sel:DWORD src1_sel:WORD_0
	v_add3_u32 v88, 0, v20, v23
	v_sub_nc_u16 v97, v62, v22
	v_mul_f32_e32 v20, v5, v26
	v_mul_f32_e32 v22, v50, v26
	v_lshlrev_b32_sdwa v23, v93, v87 dst_sel:DWORD dst_unused:UNUSED_PAD src0_sel:DWORD src1_sel:BYTE_0
	v_lshlrev_b32_sdwa v89, v40, v55 dst_sel:DWORD dst_unused:UNUSED_PAD src0_sel:DWORD src1_sel:BYTE_0
	v_add3_u32 v39, 0, v39, v70
	v_lshlrev_b32_sdwa v70, v40, v81 dst_sel:DWORD dst_unused:UNUSED_PAD src0_sel:DWORD src1_sel:WORD_0
	v_add3_u32 v72, 0, v72, v76
	v_lshlrev_b32_sdwa v76, v40, v92 dst_sel:DWORD dst_unused:UNUSED_PAD src0_sel:DWORD src1_sel:WORD_0
	v_lshlrev_b32_sdwa v57, v40, v7 dst_sel:DWORD dst_unused:UNUSED_PAD src0_sel:DWORD src1_sel:WORD_0
	v_add3_u32 v71, 0, v24, v77
	v_lshlrev_b32_sdwa v77, v40, v11 dst_sel:DWORD dst_unused:UNUSED_PAD src0_sel:DWORD src1_sel:WORD_0
	v_add3_u32 v45, 0, v45, v82
	v_lshlrev_b32_sdwa v82, v40, v80 dst_sel:DWORD dst_unused:UNUSED_PAD src0_sel:DWORD src1_sel:WORD_0
	v_fmac_f32_e32 v20, v50, v25
	v_lshlrev_b32_sdwa v50, v40, v78 dst_sel:DWORD dst_unused:UNUSED_PAD src0_sel:DWORD src1_sel:WORD_0
	v_lshlrev_b32_sdwa v26, v40, v97 dst_sel:DWORD dst_unused:UNUSED_PAD src0_sel:DWORD src1_sel:BYTE_0
	v_add3_u32 v40, 0, v75, v23
	v_mul_f32_e32 v23, v56, v28
	v_fma_f32 v5, v5, v25, -v22
	v_mul_f32_e32 v22, v46, v28
	v_mul_f32_e32 v24, v66, v30
	;; [unrolled: 1-line block ×5, first 2 shown]
	v_fmac_f32_e32 v23, v46, v27
	v_fma_f32 v22, v56, v27, -v22
	v_fmac_f32_e32 v24, v47, v29
	v_fma_f32 v25, v66, v29, -v25
	v_fma_f32 v27, v67, v36, -v30
	v_sub_f32_e32 v29, v34, v73
	v_sub_f32_e32 v30, v53, v21
	v_fmac_f32_e32 v28, v48, v36
	v_sub_f32_e32 v37, v44, v91
	v_sub_f32_e32 v46, v51, v4
	;; [unrolled: 1-line block ×6, first 2 shown]
	v_fma_f32 v5, v34, 2.0, -v29
	v_fma_f32 v34, v53, 2.0, -v30
	v_sub_f32_e32 v22, v32, v24
	v_sub_f32_e32 v53, v64, v25
	;; [unrolled: 1-line block ×7, first 2 shown]
	v_fma_f32 v25, v44, 2.0, -v37
	v_fma_f32 v44, v51, 2.0, -v46
	;; [unrolled: 1-line block ×14, first 2 shown]
	ds_write2_b32 v88, v5, v29 offset1:17
	ds_write2_b32 v40, v35, v20 offset1:17
	ds_write2_b32 v39, v32, v22 offset1:17
	ds_write2_b32 v72, v33, v23 offset1:17
	ds_write2_b32 v17, v24, v21 offset1:17
	ds_write2_b32 v31, v25, v37 offset1:17
	ds_write2_b32 v71, v41, v38 offset1:17
	ds_write2_b32 v45, v42, v4 offset1:17
	s_waitcnt lgkmcnt(0)
	s_barrier
	buffer_gl0_inv
	ds_read2_b32 v[66:67], v58 offset1:119
	ds_read2_b32 v[24:25], v14 offset0:56 offset1:175
	ds_read2_b32 v[68:69], v6 offset0:110 offset1:229
	;; [unrolled: 1-line block ×7, first 2 shown]
	s_waitcnt lgkmcnt(0)
	s_barrier
	buffer_gl0_inv
	ds_write2_b32 v88, v34, v30 offset1:17
	ds_write2_b32 v40, v52, v48 offset1:17
	;; [unrolled: 1-line block ×8, first 2 shown]
	s_waitcnt lgkmcnt(0)
	s_barrier
	buffer_gl0_inv
	s_clause 0x7
	global_load_dwordx2 v[40:41], v89, s[8:9] offset:136
	global_load_dwordx2 v[30:31], v26, s[8:9] offset:136
	;; [unrolled: 1-line block ×8, first 2 shown]
	v_mov_b32_e32 v17, 0x110
	ds_read2_b32 v[52:53], v14 offset0:56 offset1:175
	v_lshlrev_b32_sdwa v45, v93, v55 dst_sel:DWORD dst_unused:UNUSED_PAD src0_sel:DWORD src1_sel:BYTE_0
	ds_read2_b32 v[54:55], v16 offset0:38 offset1:157
	ds_read2_b32 v[56:57], v18 offset0:20 offset1:139
	v_mul_u32_u24_sdwa v19, v94, v17 dst_sel:DWORD dst_unused:UNUSED_PAD src0_sel:WORD_0 src1_sel:DWORD
	v_mul_u32_u24_sdwa v17, v49, v17 dst_sel:DWORD dst_unused:UNUSED_PAD src0_sel:WORD_0 src1_sel:DWORD
	ds_read2_b32 v[48:49], v8 offset0:130 offset1:249
	v_mul_u32_u24_e32 v42, 0x110, v95
	v_mul_u32_u24_e32 v9, 0x110, v9
	;; [unrolled: 1-line block ×4, first 2 shown]
	v_lshlrev_b32_sdwa v46, v93, v81 dst_sel:DWORD dst_unused:UNUSED_PAD src0_sel:DWORD src1_sel:WORD_0
	v_lshlrev_b32_sdwa v47, v93, v92 dst_sel:DWORD dst_unused:UNUSED_PAD src0_sel:DWORD src1_sel:WORD_0
	;; [unrolled: 1-line block ×4, first 2 shown]
	v_mul_u32_u24_e32 v13, 0x110, v13
	v_lshlrev_b32_sdwa v7, v93, v7 dst_sel:DWORD dst_unused:UNUSED_PAD src0_sel:DWORD src1_sel:WORD_0
	v_mul_u32_u24_e32 v15, 0x110, v15
	v_lshlrev_b32_sdwa v11, v93, v11 dst_sel:DWORD dst_unused:UNUSED_PAD src0_sel:DWORD src1_sel:WORD_0
	v_add3_u32 v75, 0, v19, v45
	v_lshlrev_b32_sdwa v14, v93, v97 dst_sel:DWORD dst_unused:UNUSED_PAD src0_sel:DWORD src1_sel:BYTE_0
	v_add3_u32 v76, 0, v42, v46
	v_add3_u32 v77, 0, v9, v47
	v_add3_u32 v80, 0, v43, v50
	v_add3_u32 v81, 0, v44, v51
	ds_read2_b32 v[50:51], v58 offset1:119
	ds_read2_b32 v[46:47], v6 offset0:110 offset1:229
	ds_read2_b32 v[44:45], v10 offset0:92 offset1:211
	;; [unrolled: 1-line block ×3, first 2 shown]
	v_add3_u32 v78, 0, v13, v7
	v_add3_u32 v79, 0, v15, v11
	;; [unrolled: 1-line block ×3, first 2 shown]
	v_add_nc_u32_e32 v74, 0x400, v58
	v_add_nc_u32_e32 v70, 0x800, v58
	;; [unrolled: 1-line block ×5, first 2 shown]
	s_waitcnt vmcnt(0) lgkmcnt(0)
	s_barrier
	buffer_gl0_inv
	v_mul_f32_e32 v6, v52, v41
	v_mul_f32_e32 v7, v53, v31
	;; [unrolled: 1-line block ×8, first 2 shown]
	v_fmac_f32_e32 v6, v24, v40
	v_fmac_f32_e32 v7, v25, v30
	;; [unrolled: 1-line block ×8, first 2 shown]
	v_sub_f32_e32 v6, v66, v6
	v_sub_f32_e32 v7, v67, v7
	;; [unrolled: 1-line block ×8, first 2 shown]
	v_fma_f32 v14, v66, 2.0, -v6
	v_fma_f32 v15, v67, 2.0, -v7
	;; [unrolled: 1-line block ×8, first 2 shown]
	ds_write2_b32 v75, v14, v6 offset1:34
	ds_write2_b32 v82, v15, v7 offset1:34
	;; [unrolled: 1-line block ×8, first 2 shown]
	s_waitcnt lgkmcnt(0)
	s_barrier
	buffer_gl0_inv
	ds_read2_b32 v[6:7], v58 offset1:119
	ds_read2_b32 v[18:19], v74 offset0:16 offset1:135
	ds_read2_b32 v[16:17], v70 offset0:32 offset1:151
	;; [unrolled: 1-line block ×6, first 2 shown]
                                        ; implicit-def: $vgpr67
                                        ; implicit-def: $vgpr66
                                        ; implicit-def: $vgpr68
                                        ; implicit-def: $vgpr69
	s_and_saveexec_b32 s1, s0
	s_cbranch_execz .LBB0_17
; %bb.16:
	ds_read_b32 v64, v58 offset:952
	ds_read_b32 v65, v58 offset:2040
	;; [unrolled: 1-line block ×7, first 2 shown]
.LBB0_17:
	s_or_b32 exec_lo, exec_lo, s1
	v_mul_f32_e32 v24, v24, v41
	v_mul_f32_e32 v25, v25, v31
	;; [unrolled: 1-line block ×5, first 2 shown]
	v_fma_f32 v24, v52, v40, -v24
	v_mul_f32_e32 v21, v21, v39
	v_mul_f32_e32 v4, v4, v27
	;; [unrolled: 1-line block ×3, first 2 shown]
	v_fma_f32 v25, v53, v30, -v25
	v_fma_f32 v22, v54, v32, -v22
	;; [unrolled: 1-line block ×5, first 2 shown]
	v_sub_f32_e32 v24, v50, v24
	v_fma_f32 v4, v48, v26, -v4
	v_fma_f32 v5, v49, v28, -v5
	v_sub_f32_e32 v25, v51, v25
	v_sub_f32_e32 v22, v46, v22
	v_sub_f32_e32 v23, v47, v23
	v_sub_f32_e32 v20, v44, v20
	v_fma_f32 v26, v50, 2.0, -v24
	v_sub_f32_e32 v21, v45, v21
	v_sub_f32_e32 v4, v42, v4
	;; [unrolled: 1-line block ×3, first 2 shown]
	v_fma_f32 v27, v51, 2.0, -v25
	v_fma_f32 v28, v46, 2.0, -v22
	v_fma_f32 v5, v47, 2.0, -v23
	v_fma_f32 v29, v44, 2.0, -v20
	v_fma_f32 v30, v45, 2.0, -v21
	v_fma_f32 v31, v42, 2.0, -v4
	v_fma_f32 v32, v43, 2.0, -v34
	s_waitcnt lgkmcnt(0)
	s_barrier
	buffer_gl0_inv
	ds_write2_b32 v75, v26, v24 offset1:34
	ds_write2_b32 v82, v27, v25 offset1:34
	;; [unrolled: 1-line block ×8, first 2 shown]
	v_add_nc_u32_e32 v22, 0x1800, v58
	s_waitcnt lgkmcnt(0)
	s_barrier
	buffer_gl0_inv
	ds_read2_b32 v[4:5], v58 offset1:119
	ds_read2_b32 v[20:21], v74 offset0:16 offset1:135
	ds_read2_b32 v[30:31], v70 offset0:32 offset1:151
	;; [unrolled: 1-line block ×6, first 2 shown]
                                        ; implicit-def: $vgpr40
                                        ; implicit-def: $vgpr39
                                        ; implicit-def: $vgpr41
                                        ; implicit-def: $vgpr42
	s_and_saveexec_b32 s1, s0
	s_cbranch_execz .LBB0_19
; %bb.18:
	ds_read_b32 v32, v58 offset:952
	ds_read_b32 v34, v58 offset:2040
	;; [unrolled: 1-line block ×7, first 2 shown]
.LBB0_19:
	s_or_b32 exec_lo, exec_lo, s1
	v_add_nc_u32_e32 v33, 0xffffffbc, v0
	v_cmp_gt_u32_e64 s1, 0x44, v0
	v_mov_b32_e32 v36, 0
	v_mul_lo_u16 v37, 0x79, v63
	v_mov_b32_e32 v43, 6
	v_cndmask_b32_e64 v33, v33, v0, s1
	v_lshrrev_b16 v37, 13, v37
	v_mul_i32_i24_e32 v35, 6, v33
	v_lshlrev_b32_e32 v33, 2, v33
	v_mul_lo_u16 v38, 0x44, v37
	v_lshlrev_b64 v[35:36], 3, v[35:36]
	v_sub_nc_u16 v38, v62, v38
	v_add_co_u32 v35, s1, s8, v35
	v_add_co_ci_u32_e64 v36, s1, s9, v36, s1
	v_mul_u32_u24_sdwa v43, v38, v43 dst_sel:DWORD dst_unused:UNUSED_PAD src0_sel:BYTE_0 src1_sel:DWORD
	v_cmp_lt_u32_e64 s1, 0x43, v0
	s_clause 0x2
	global_load_dwordx4 v[48:51], v[35:36], off offset:408
	global_load_dwordx4 v[52:55], v[35:36], off offset:424
	;; [unrolled: 1-line block ×3, first 2 shown]
	v_mov_b32_e32 v36, 0xf0f1
	v_lshlrev_b32_e32 v35, 3, v43
	v_cndmask_b32_e64 v44, 0, 0x770, s1
	v_mul_u32_u24_sdwa v36, v61, v36 dst_sel:DWORD dst_unused:UNUSED_PAD src0_sel:WORD_0 src1_sel:DWORD
	s_clause 0x2
	global_load_dwordx4 v[74:77], v35, s[8:9] offset:408
	global_load_dwordx4 v[78:81], v35, s[8:9] offset:424
	;; [unrolled: 1-line block ×3, first 2 shown]
	v_lshrrev_b32_e32 v36, 22, v36
	v_mul_lo_u16 v36, 0x44, v36
	v_sub_nc_u16 v35, v61, v36
	v_mov_b32_e32 v36, 2
	v_and_b32_e32 v43, 0xffff, v35
	v_mul_u32_u24_e32 v35, 6, v43
	v_lshlrev_b32_e32 v35, 3, v35
	s_clause 0x2
	global_load_dwordx4 v[86:89], v35, s[8:9] offset:408
	global_load_dwordx4 v[90:93], v35, s[8:9] offset:424
	;; [unrolled: 1-line block ×3, first 2 shown]
	v_mov_b32_e32 v35, 0x770
	s_waitcnt vmcnt(0) lgkmcnt(0)
	s_barrier
	buffer_gl0_inv
	v_mul_u32_u24_sdwa v35, v37, v35 dst_sel:DWORD dst_unused:UNUSED_PAD src0_sel:WORD_0 src1_sel:DWORD
	v_lshlrev_b32_sdwa v37, v36, v38 dst_sel:DWORD dst_unused:UNUSED_PAD src0_sel:DWORD src1_sel:BYTE_0
	v_add3_u32 v36, 0, v44, v33
	v_lshl_add_u32 v33, v43, 2, 0
	v_add3_u32 v35, 0, v35, v37
	v_add_nc_u32_e32 v38, 0x400, v36
	v_add_nc_u32_e32 v37, 0x400, v35
	v_mul_f32_e32 v44, v20, v49
	v_mul_f32_e32 v49, v18, v49
	;; [unrolled: 1-line block ×9, first 2 shown]
	v_fmac_f32_e32 v44, v18, v48
	v_mul_f32_e32 v18, v8, v73
	v_fma_f32 v48, v20, v48, -v49
	v_fmac_f32_e32 v43, v16, v50
	v_fma_f32 v49, v30, v50, -v51
	v_mul_f32_e32 v50, v22, v73
	v_mul_f32_e32 v56, v10, v71
	;; [unrolled: 1-line block ×3, first 2 shown]
	v_fmac_f32_e32 v45, v14, v52
	v_fma_f32 v51, v28, v52, -v53
	v_fmac_f32_e32 v46, v12, v54
	v_fma_f32 v52, v26, v54, -v55
	v_mul_f32_e32 v12, v31, v77
	v_fmac_f32_e32 v47, v10, v70
	v_fma_f32 v54, v22, v72, -v18
	v_mul_f32_e32 v10, v25, v83
	v_mul_f32_e32 v18, v23, v85
	;; [unrolled: 1-line block ×3, first 2 shown]
	v_fmac_f32_e32 v50, v8, v72
	v_mul_f32_e32 v8, v27, v81
	v_mul_f32_e32 v22, v13, v81
	;; [unrolled: 1-line block ×5, first 2 shown]
	v_fma_f32 v53, v24, v70, -v56
	v_mul_f32_e32 v24, v11, v83
	v_mul_f32_e32 v30, v9, v85
	v_fmac_f32_e32 v16, v19, v74
	v_fmac_f32_e32 v12, v17, v76
	;; [unrolled: 1-line block ×4, first 2 shown]
	v_fma_f32 v17, v31, v76, -v26
	v_fmac_f32_e32 v8, v13, v80
	v_fma_f32 v13, v27, v80, -v22
	v_add_f32_e32 v26, v44, v50
	v_add_f32_e32 v27, v43, v47
	v_fma_f32 v19, v21, v74, -v20
	v_fmac_f32_e32 v14, v15, v78
	v_fma_f32 v15, v29, v78, -v28
	v_fma_f32 v11, v25, v82, -v24
	;; [unrolled: 1-line block ×3, first 2 shown]
	v_sub_f32_e32 v31, v48, v54
	v_sub_f32_e32 v28, v49, v53
	v_add_f32_e32 v55, v45, v46
	v_sub_f32_e32 v29, v52, v51
	v_mul_f32_e32 v30, v65, v87
	v_add_f32_e32 v71, v16, v18
	v_add_f32_e32 v73, v12, v10
	;; [unrolled: 1-line block ×3, first 2 shown]
	v_mul_f32_e32 v56, v1, v89
	v_mul_f32_e32 v62, v67, v93
	v_mul_f32_e32 v63, v68, v95
	v_sub_f32_e32 v72, v19, v9
	v_sub_f32_e32 v74, v17, v11
	v_add_f32_e32 v75, v14, v8
	v_sub_f32_e32 v76, v13, v15
	v_mul_f32_e32 v21, v34, v87
	v_mul_f32_e32 v25, v39, v97
	v_sub_f32_e32 v78, v27, v26
	v_sub_f32_e32 v79, v26, v55
	;; [unrolled: 1-line block ×4, first 2 shown]
	v_fma_f32 v26, v34, v86, -v30
	v_add_f32_e32 v34, v73, v71
	v_sub_f32_e32 v80, v55, v27
	v_add_f32_e32 v55, v55, v77
	v_mul_f32_e32 v20, v59, v89
	v_mul_f32_e32 v57, v69, v91
	;; [unrolled: 1-line block ×5, first 2 shown]
	v_add_f32_e32 v81, v29, v28
	v_sub_f32_e32 v83, v31, v29
	v_fma_f32 v27, v59, v88, -v56
	v_fma_f32 v28, v40, v92, -v62
	;; [unrolled: 1-line block ×3, first 2 shown]
	v_sub_f32_e32 v40, v71, v75
	v_sub_f32_e32 v41, v75, v73
	;; [unrolled: 1-line block ×4, first 2 shown]
	v_fmac_f32_e32 v21, v65, v86
	v_fmac_f32_e32 v25, v66, v96
	v_mul_f32_e32 v65, 0x3f08b237, v82
	v_mul_f32_e32 v66, 0xbf5ff5aa, v84
	v_add_f32_e32 v34, v75, v34
	v_mul_f32_e32 v22, v42, v91
	v_mul_f32_e32 v62, 0x3f4a47b2, v79
	v_add_f32_e32 v6, v6, v55
	v_fmac_f32_e32 v20, v1, v88
	v_fma_f32 v1, v42, v90, -v57
	v_fmac_f32_e32 v23, v67, v92
	v_fmac_f32_e32 v24, v68, v94
	v_fma_f32 v30, v39, v96, -v70
	v_sub_f32_e32 v39, v73, v71
	v_add_f32_e32 v42, v76, v74
	v_sub_f32_e32 v57, v72, v76
	v_mul_f32_e32 v63, 0x3d64c772, v80
	v_mul_f32_e32 v40, 0x3f4a47b2, v40
	;; [unrolled: 1-line block ×5, first 2 shown]
	v_add_f32_e32 v31, v81, v31
	v_fmamk_f32 v70, v83, 0xbeae86e6, v65
	v_fma_f32 v65, 0xbf5ff5aa, v84, -v65
	v_fma_f32 v66, 0x3eae86e6, v83, -v66
	v_add_f32_e32 v7, v7, v34
	v_fmac_f32_e32 v22, v69, v90
	v_fmamk_f32 v69, v80, 0x3d64c772, v62
	v_fmamk_f32 v55, v55, 0xbf955555, v6
	v_add_f32_e32 v42, v42, v72
	v_fma_f32 v63, 0x3f3bfb3b, v78, -v63
	v_fma_f32 v62, 0xbf3bfb3b, v78, -v62
	v_fmamk_f32 v41, v41, 0x3d64c772, v40
	v_fma_f32 v67, 0x3f3bfb3b, v39, -v67
	v_fma_f32 v39, 0xbf3bfb3b, v39, -v40
	v_fmamk_f32 v40, v57, 0xbeae86e6, v56
	v_fma_f32 v56, 0xbf5ff5aa, v59, -v56
	v_fma_f32 v57, 0x3eae86e6, v57, -v68
	v_fmac_f32_e32 v70, 0xbee1c552, v31
	v_fmac_f32_e32 v65, 0xbee1c552, v31
	;; [unrolled: 1-line block ×3, first 2 shown]
	v_fmamk_f32 v31, v34, 0xbf955555, v7
	v_add_f32_e32 v34, v69, v55
	v_fmac_f32_e32 v40, 0xbee1c552, v42
	v_fmac_f32_e32 v56, 0xbee1c552, v42
	;; [unrolled: 1-line block ×3, first 2 shown]
	v_add_f32_e32 v42, v63, v55
	v_add_f32_e32 v55, v62, v55
	;; [unrolled: 1-line block ×7, first 2 shown]
	v_sub_f32_e32 v63, v42, v65
	v_add_f32_e32 v42, v65, v42
	v_sub_f32_e32 v55, v55, v66
	v_sub_f32_e32 v34, v34, v70
	v_add_f32_e32 v65, v40, v41
	v_add_f32_e32 v66, v57, v31
	v_sub_f32_e32 v67, v59, v56
	v_add_f32_e32 v56, v56, v59
	v_sub_f32_e32 v31, v31, v57
	v_sub_f32_e32 v40, v41, v40
	ds_write2_b32 v36, v6, v39 offset1:68
	ds_write2_b32 v36, v62, v63 offset0:136 offset1:204
	ds_write2_b32 v38, v42, v55 offset0:16 offset1:84
	ds_write_b32 v36, v34 offset:1632
	ds_write2_b32 v35, v7, v65 offset1:68
	ds_write2_b32 v35, v66, v67 offset0:136 offset1:204
	ds_write2_b32 v37, v56, v31 offset0:16 offset1:84
	ds_write_b32 v35, v40 offset:1632
	s_and_saveexec_b32 s1, s0
	s_cbranch_execz .LBB0_21
; %bb.20:
	v_add_f32_e32 v6, v21, v25
	v_add_f32_e32 v31, v20, v24
	;; [unrolled: 1-line block ×3, first 2 shown]
	v_sub_f32_e32 v34, v28, v1
	v_sub_f32_e32 v41, v27, v29
	;; [unrolled: 1-line block ×3, first 2 shown]
	v_add_f32_e32 v40, v31, v6
	v_sub_f32_e32 v39, v6, v7
	v_sub_f32_e32 v55, v7, v31
	;; [unrolled: 1-line block ×4, first 2 shown]
	v_add_f32_e32 v7, v7, v40
	v_sub_f32_e32 v40, v34, v41
	v_mul_f32_e32 v39, 0x3f4a47b2, v39
	v_mul_f32_e32 v57, 0x3d64c772, v55
	v_sub_f32_e32 v62, v42, v34
	v_add_f32_e32 v59, v64, v7
	v_add_f32_e32 v34, v34, v41
	v_mul_f32_e32 v31, 0xbf5ff5aa, v56
	v_mul_f32_e32 v40, 0x3f08b237, v40
	v_fmamk_f32 v55, v55, 0x3d64c772, v39
	v_fmamk_f32 v7, v7, 0xbf955555, v59
	v_add_f32_e32 v34, v34, v42
	v_fma_f32 v39, 0xbf3bfb3b, v6, -v39
	v_fma_f32 v31, 0x3eae86e6, v62, -v31
	;; [unrolled: 1-line block ×4, first 2 shown]
	v_fmamk_f32 v40, v62, 0xbeae86e6, v40
	v_add_f32_e32 v39, v39, v7
	v_fmac_f32_e32 v31, 0xbee1c552, v34
	v_fmac_f32_e32 v41, 0xbee1c552, v34
	v_add_f32_e32 v6, v6, v7
	v_add_f32_e32 v7, v55, v7
	v_fmac_f32_e32 v40, 0xbee1c552, v34
	v_sub_f32_e32 v34, v39, v31
	v_add_f32_e32 v31, v31, v39
	v_add_nc_u32_e32 v55, 0x1400, v33
	v_sub_f32_e32 v42, v6, v41
	v_add_f32_e32 v39, v40, v7
	v_add_nc_u32_e32 v56, 0x1800, v33
	v_add_f32_e32 v6, v41, v6
	v_sub_f32_e32 v7, v7, v40
	ds_write2_b32 v55, v59, v39 offset0:148 offset1:216
	ds_write2_b32 v56, v31, v42 offset0:28 offset1:96
	;; [unrolled: 1-line block ×3, first 2 shown]
	ds_write_b32 v33, v7 offset:7344
.LBB0_21:
	s_or_b32 exec_lo, exec_lo, s1
	v_add_f32_e32 v6, v48, v54
	v_add_f32_e32 v7, v49, v53
	;; [unrolled: 1-line block ×3, first 2 shown]
	v_sub_f32_e32 v39, v43, v47
	v_sub_f32_e32 v40, v46, v45
	;; [unrolled: 1-line block ×3, first 2 shown]
	v_add_f32_e32 v41, v7, v6
	v_sub_f32_e32 v42, v7, v6
	v_sub_f32_e32 v6, v6, v34
	;; [unrolled: 1-line block ×3, first 2 shown]
	v_add_f32_e32 v43, v40, v39
	v_add_f32_e32 v34, v34, v41
	v_sub_f32_e32 v41, v40, v39
	v_sub_f32_e32 v40, v31, v40
	;; [unrolled: 1-line block ×3, first 2 shown]
	v_add_f32_e32 v31, v43, v31
	v_add_f32_e32 v43, v4, v34
	v_mul_f32_e32 v4, 0x3f4a47b2, v6
	v_mul_f32_e32 v6, 0x3d64c772, v7
	;; [unrolled: 1-line block ×4, first 2 shown]
	v_fmamk_f32 v34, v34, 0xbf955555, v43
	v_fmamk_f32 v7, v7, 0x3d64c772, v4
	v_fma_f32 v6, 0x3f3bfb3b, v42, -v6
	v_fma_f32 v39, 0xbf5ff5aa, v39, -v41
	;; [unrolled: 1-line block ×3, first 2 shown]
	v_fmamk_f32 v42, v40, 0xbeae86e6, v41
	v_add_f32_e32 v41, v7, v34
	v_add_f32_e32 v6, v6, v34
	v_fmac_f32_e32 v39, 0xbee1c552, v31
	v_add_f32_e32 v34, v4, v34
	v_add_f32_e32 v4, v19, v9
	;; [unrolled: 1-line block ×3, first 2 shown]
	v_sub_f32_e32 v7, v16, v18
	v_add_f32_e32 v45, v39, v6
	v_sub_f32_e32 v39, v6, v39
	v_add_f32_e32 v6, v17, v11
	v_sub_f32_e32 v10, v12, v10
	v_sub_f32_e32 v8, v8, v14
	s_waitcnt lgkmcnt(0)
	s_barrier
	v_add_f32_e32 v11, v6, v4
	v_sub_f32_e32 v12, v6, v4
	v_sub_f32_e32 v4, v4, v9
	;; [unrolled: 1-line block ×3, first 2 shown]
	v_add_f32_e32 v13, v8, v10
	v_add_f32_e32 v9, v9, v11
	v_sub_f32_e32 v11, v8, v10
	v_sub_f32_e32 v10, v10, v7
	v_mul_f32_e32 v4, 0x3f4a47b2, v4
	v_sub_f32_e32 v8, v7, v8
	v_add_f32_e32 v46, v5, v9
	v_add_f32_e32 v7, v13, v7
	v_mul_f32_e32 v11, 0x3f08b237, v11
	v_mul_f32_e32 v13, 0xbf5ff5aa, v10
	;; [unrolled: 1-line block ×3, first 2 shown]
	v_fmamk_f32 v9, v9, 0xbf955555, v46
	v_fmamk_f32 v6, v6, 0x3d64c772, v4
	;; [unrolled: 1-line block ×3, first 2 shown]
	v_fma_f32 v48, 0xbf5ff5aa, v10, -v11
	v_fma_f32 v49, 0x3eae86e6, v8, -v13
	;; [unrolled: 1-line block ×4, first 2 shown]
	v_add_f32_e32 v50, v6, v9
	v_add_nc_u32_e32 v6, 0x600, v58
	v_fmac_f32_e32 v47, 0xbee1c552, v7
	v_fmac_f32_e32 v48, 0xbee1c552, v7
	;; [unrolled: 1-line block ×3, first 2 shown]
	v_add_nc_u32_e32 v7, 0xe00, v58
	v_add_f32_e32 v51, v5, v9
	v_add_f32_e32 v52, v4, v9
	buffer_gl0_inv
	ds_read2_b32 v[4:5], v58 offset1:119
	ds_read2_b32 v[10:11], v6 offset0:92 offset1:211
	ds_read2_b32 v[8:9], v7 offset0:56 offset1:175
	v_add_nc_u32_e32 v6, 0x1600, v58
	v_add_nc_u32_e32 v7, 0x200, v58
	;; [unrolled: 1-line block ×5, first 2 shown]
	ds_read2_b32 v[12:13], v6 offset0:20 offset1:139
	ds_read2_b32 v[6:7], v7 offset0:110 offset1:229
	;; [unrolled: 1-line block ×5, first 2 shown]
	v_fma_f32 v40, 0x3eae86e6, v40, -v44
	v_fmac_f32_e32 v42, 0xbee1c552, v31
	v_add_f32_e32 v53, v48, v51
	v_sub_f32_e32 v48, v51, v48
	s_waitcnt lgkmcnt(0)
	v_fmac_f32_e32 v40, 0xbee1c552, v31
	v_sub_f32_e32 v31, v41, v42
	s_barrier
	buffer_gl0_inv
	v_sub_f32_e32 v44, v34, v40
	v_add_f32_e32 v34, v40, v34
	v_add_f32_e32 v40, v42, v41
	v_sub_f32_e32 v41, v50, v47
	v_sub_f32_e32 v42, v52, v49
	v_add_f32_e32 v49, v49, v52
	v_add_f32_e32 v47, v47, v50
	ds_write2_b32 v36, v43, v31 offset1:68
	ds_write2_b32 v36, v44, v45 offset0:136 offset1:204
	ds_write2_b32 v38, v39, v34 offset0:16 offset1:84
	ds_write_b32 v36, v40 offset:1632
	ds_write2_b32 v35, v46, v41 offset1:68
	ds_write2_b32 v35, v42, v53 offset0:136 offset1:204
	ds_write2_b32 v37, v48, v49 offset0:16 offset1:84
	ds_write_b32 v35, v47 offset:1632
	s_and_saveexec_b32 s1, s0
	s_cbranch_execz .LBB0_23
; %bb.22:
	v_add_f32_e32 v26, v26, v30
	v_add_f32_e32 v27, v27, v29
	;; [unrolled: 1-line block ×3, first 2 shown]
	v_sub_f32_e32 v20, v20, v24
	v_sub_f32_e32 v22, v23, v22
	v_sub_f32_e32 v21, v21, v25
	v_add_f32_e32 v23, v27, v26
	v_sub_f32_e32 v24, v27, v26
	v_sub_f32_e32 v25, v26, v1
	;; [unrolled: 1-line block ×3, first 2 shown]
	v_add_f32_e32 v27, v22, v20
	v_add_f32_e32 v1, v1, v23
	v_sub_f32_e32 v23, v22, v20
	v_sub_f32_e32 v20, v20, v21
	;; [unrolled: 1-line block ×3, first 2 shown]
	v_add_f32_e32 v21, v27, v21
	v_add_f32_e32 v27, v32, v1
	v_mul_f32_e32 v25, 0x3f4a47b2, v25
	v_mul_f32_e32 v28, 0x3d64c772, v26
	;; [unrolled: 1-line block ×4, first 2 shown]
	v_fmamk_f32 v1, v1, 0xbf955555, v27
	v_fmamk_f32 v26, v26, 0x3d64c772, v25
	v_fma_f32 v28, 0x3f3bfb3b, v24, -v28
	v_fma_f32 v24, 0xbf3bfb3b, v24, -v25
	v_fmamk_f32 v25, v22, 0xbeae86e6, v23
	v_fma_f32 v20, 0xbf5ff5aa, v20, -v23
	v_fma_f32 v22, 0x3eae86e6, v22, -v29
	v_add_f32_e32 v23, v26, v1
	v_add_f32_e32 v26, v28, v1
	v_fmac_f32_e32 v25, 0xbee1c552, v21
	v_fmac_f32_e32 v20, 0xbee1c552, v21
	v_add_f32_e32 v1, v24, v1
	v_fmac_f32_e32 v22, 0xbee1c552, v21
	v_add_nc_u32_e32 v29, 0x1800, v33
	v_sub_f32_e32 v21, v23, v25
	v_add_f32_e32 v28, v20, v26
	v_sub_f32_e32 v20, v26, v20
	v_add_nc_u32_e32 v26, 0x1400, v33
	v_sub_f32_e32 v24, v1, v22
	v_add_f32_e32 v1, v22, v1
	v_add_f32_e32 v22, v25, v23
	ds_write2_b32 v26, v27, v21 offset0:148 offset1:216
	ds_write2_b32 v29, v24, v28 offset0:28 offset1:96
	;; [unrolled: 1-line block ×3, first 2 shown]
	ds_write_b32 v33, v22 offset:7344
.LBB0_23:
	s_or_b32 exec_lo, exec_lo, s1
	s_waitcnt lgkmcnt(0)
	s_barrier
	buffer_gl0_inv
	s_and_saveexec_b32 s0, vcc_lo
	s_cbranch_execz .LBB0_25
; %bb.24:
	v_mul_u32_u24_e32 v1, 3, v60
	v_mul_u32_u24_e32 v23, 3, v0
	v_mov_b32_e32 v37, 0
	v_mad_u32_u24 v36, v60, 3, 0xfffffe9b
	v_mul_hi_u32 v57, 0x44d72045, v61
	v_lshlrev_b32_e32 v1, 3, v1
	v_mul_hi_u32 v61, 0x44d72045, v60
	v_add_nc_u32_e32 v50, 0xa00, v58
	v_add_nc_u32_e32 v52, 0x1800, v58
	;; [unrolled: 1-line block ×3, first 2 shown]
	v_add_co_u32 v1, s0, s8, v1
	v_add_co_ci_u32_e64 v22, null, s9, 0, s0
	v_lshrrev_b32_e32 v63, 7, v61
	v_add_co_u32 v20, vcc_lo, 0x800, v1
	v_add_co_ci_u32_e32 v21, vcc_lo, 0, v22, vcc_lo
	v_add_co_u32 v24, vcc_lo, 0xe58, v1
	v_lshlrev_b32_e32 v1, 3, v23
	v_add_co_ci_u32_e32 v25, vcc_lo, 0, v22, vcc_lo
	s_clause 0x1
	global_load_dwordx4 v[20:23], v[20:21], off offset:1624
	global_load_dwordx2 v[38:39], v[24:25], off offset:16
	v_add_co_u32 v1, s0, s8, v1
	v_add_co_ci_u32_e64 v31, null, s9, 0, s0
	v_lshlrev_b64 v[24:25], 3, v[36:37]
	v_add_co_u32 v26, vcc_lo, 0x800, v1
	v_add_co_ci_u32_e32 v27, vcc_lo, 0, v31, vcc_lo
	v_mad_u32_u24 v36, v60, 3, 0xfffffd36
	v_add_co_u32 v32, vcc_lo, s8, v24
	v_add_co_ci_u32_e32 v33, vcc_lo, s9, v25, vcc_lo
	v_lshlrev_b64 v[34:35], 3, v[36:37]
	v_add_co_u32 v28, vcc_lo, 0x800, v32
	v_add_co_ci_u32_e32 v29, vcc_lo, 0, v33, vcc_lo
	v_add_co_u32 v30, vcc_lo, 0xe58, v1
	v_add_co_ci_u32_e32 v31, vcc_lo, 0, v31, vcc_lo
	;; [unrolled: 2-line block ×4, first 2 shown]
	s_clause 0x3
	global_load_dwordx4 v[24:27], v[26:27], off offset:1624
	global_load_dwordx2 v[40:41], v[30:31], off offset:16
	global_load_dwordx4 v[28:31], v[28:29], off offset:1624
	global_load_dwordx2 v[42:43], v[32:33], off offset:16
	v_add_co_u32 v32, vcc_lo, 0x800, v1
	v_add_co_ci_u32_e32 v33, vcc_lo, 0, v34, vcc_lo
	v_add_co_u32 v44, vcc_lo, 0xe58, v1
	v_add_co_ci_u32_e32 v45, vcc_lo, 0, v34, vcc_lo
	s_clause 0x1
	global_load_dwordx4 v[32:35], v[32:33], off offset:1624
	global_load_dwordx2 v[44:45], v[44:45], off offset:16
	v_add_nc_u32_e32 v1, 0x200, v58
	v_add_nc_u32_e32 v36, 0x1200, v58
	v_add_co_u32 v79, vcc_lo, s2, v2
	ds_read2_b32 v[46:47], v58 offset1:119
	v_add_co_ci_u32_e32 v80, vcc_lo, s3, v3, vcc_lo
	ds_read2_b32 v[2:3], v1 offset0:110 offset1:229
	ds_read2_b32 v[48:49], v36 offset0:38 offset1:157
	v_mov_b32_e32 v1, v37
	v_lshrrev_b32_e32 v36, 7, v57
	ds_read2_b32 v[50:51], v50 offset0:74 offset1:193
	ds_read2_b32 v[52:53], v52 offset0:130 offset1:249
	;; [unrolled: 1-line block ×3, first 2 shown]
	v_add_nc_u32_e32 v56, 0x600, v58
	v_add_nc_u32_e32 v58, 0x1600, v58
	v_lshlrev_b64 v[0:1], 3, v[0:1]
	v_mul_u32_u24_e32 v36, 0x594, v36
	ds_read2_b32 v[56:57], v56 offset0:92 offset1:211
	ds_read2_b32 v[58:59], v58 offset0:20 offset1:139
	v_add_co_u32 v0, vcc_lo, v79, v0
	v_add_co_ci_u32_e32 v1, vcc_lo, v80, v1, vcc_lo
	v_lshlrev_b64 v[61:62], 3, v[36:37]
	v_mad_u32_u24 v36, 0x594, v63, v60
	v_add_co_u32 v63, vcc_lo, 0x800, v0
	v_add_co_ci_u32_e32 v64, vcc_lo, 0, v1, vcc_lo
	v_add_co_u32 v65, vcc_lo, 0x1800, v0
	v_add_co_ci_u32_e32 v66, vcc_lo, 0, v1, vcc_lo
	;; [unrolled: 2-line block ×7, first 2 shown]
	v_lshlrev_b64 v[36:37], 3, v[36:37]
	v_add_co_u32 v75, vcc_lo, 0x1000, v60
	v_add_co_ci_u32_e32 v76, vcc_lo, 0, v61, vcc_lo
	v_add_co_u32 v77, vcc_lo, 0x2000, v60
	v_add_co_ci_u32_e32 v78, vcc_lo, 0, v61, vcc_lo
	;; [unrolled: 2-line block ×7, first 2 shown]
	s_waitcnt vmcnt(7)
	v_mul_f32_e32 v62, v15, v23
	v_mul_f32_e32 v87, v17, v20
	s_waitcnt lgkmcnt(5)
	v_mul_f32_e32 v23, v49, v23
	v_mul_f32_e32 v17, v17, v21
	s_waitcnt vmcnt(6)
	v_mul_f32_e32 v88, v19, v38
	v_fma_f32 v49, v49, v22, -v62
	s_waitcnt lgkmcnt(4)
	v_fmac_f32_e32 v87, v51, v21
	v_fmac_f32_e32 v23, v15, v22
	v_fma_f32 v15, v51, v20, -v17
	v_mul_f32_e32 v19, v19, v39
	s_waitcnt lgkmcnt(3)
	v_fmac_f32_e32 v88, v53, v39
	v_sub_f32_e32 v23, v7, v23
	v_fma_f32 v19, v53, v38, -v19
	v_sub_f32_e32 v19, v15, v19
	v_fma_f32 v15, v15, 2.0, -v19
	s_waitcnt vmcnt(5)
	v_mul_f32_e32 v89, v8, v27
	v_mul_f32_e32 v17, v10, v24
	s_waitcnt lgkmcnt(2)
	v_mul_f32_e32 v20, v54, v27
	v_mul_f32_e32 v10, v10, v25
	v_fma_f32 v21, v54, v26, -v89
	s_waitcnt lgkmcnt(1)
	v_fmac_f32_e32 v17, v56, v25
	v_fmac_f32_e32 v20, v8, v26
	v_fma_f32 v22, v56, v24, -v10
	s_waitcnt vmcnt(4)
	v_mul_f32_e32 v8, v12, v40
	v_mul_f32_e32 v10, v12, v41
	s_waitcnt vmcnt(3)
	v_mul_f32_e32 v12, v14, v31
	v_mul_f32_e32 v24, v16, v28
	;; [unrolled: 1-line block ×3, first 2 shown]
	s_waitcnt vmcnt(2)
	v_mul_f32_e32 v25, v18, v42
	v_mul_f32_e32 v18, v18, v43
	;; [unrolled: 1-line block ×3, first 2 shown]
	s_waitcnt lgkmcnt(0)
	v_fmac_f32_e32 v8, v58, v41
	v_fma_f32 v10, v58, v40, -v10
	v_fma_f32 v12, v48, v30, -v12
	v_fmac_f32_e32 v24, v50, v29
	v_fmac_f32_e32 v25, v52, v43
	;; [unrolled: 1-line block ×3, first 2 shown]
	v_fma_f32 v14, v50, v28, -v16
	v_fma_f32 v16, v52, v42, -v18
	s_waitcnt vmcnt(1)
	v_mul_f32_e32 v18, v9, v35
	v_mul_f32_e32 v27, v11, v32
	s_waitcnt vmcnt(0)
	v_mul_f32_e32 v28, v13, v44
	v_mul_f32_e32 v29, v55, v35
	;; [unrolled: 1-line block ×4, first 2 shown]
	v_sub_f32_e32 v30, v3, v49
	v_sub_f32_e32 v31, v87, v88
	;; [unrolled: 1-line block ×10, first 2 shown]
	v_fma_f32 v18, v55, v34, -v18
	v_fmac_f32_e32 v27, v57, v33
	v_fmac_f32_e32 v28, v59, v45
	v_fmac_f32_e32 v29, v9, v34
	v_fma_f32 v26, v57, v32, -v11
	v_fma_f32 v13, v59, v44, -v13
	v_sub_f32_e32 v9, v30, v31
	v_add_f32_e32 v8, v23, v19
	v_fma_f32 v32, v3, 2.0, -v30
	v_fma_f32 v19, v87, 2.0, -v31
	v_sub_f32_e32 v11, v21, v35
	v_add_f32_e32 v10, v20, v38
	v_fma_f32 v31, v46, 2.0, -v21
	v_fma_f32 v22, v22, 2.0, -v38
	;; [unrolled: 1-line block ×4, first 2 shown]
	v_add_f32_e32 v3, v25, v16
	v_fma_f32 v40, v6, 2.0, -v25
	v_fma_f32 v24, v24, 2.0, -v12
	v_sub_f32_e32 v41, v47, v18
	v_sub_f32_e32 v28, v27, v28
	;; [unrolled: 1-line block ×4, first 2 shown]
	v_fma_f32 v33, v7, 2.0, -v23
	v_fma_f32 v38, v2, 2.0, -v39
	;; [unrolled: 1-line block ×3, first 2 shown]
	v_sub_f32_e32 v4, v39, v12
	v_sub_f32_e32 v13, v32, v15
	v_fma_f32 v15, v21, 2.0, -v11
	v_fma_f32 v14, v20, 2.0, -v10
	v_sub_f32_e32 v17, v31, v22
	v_sub_f32_e32 v16, v34, v35
	global_store_dwordx2 v[67:68], v[10:11], off offset:1184
	v_fma_f32 v10, v25, 2.0, -v3
	v_sub_f32_e32 v18, v40, v24
	v_sub_f32_e32 v21, v41, v28
	v_add_f32_e32 v20, v29, v42
	v_fma_f32 v24, v47, 2.0, -v41
	v_fma_f32 v22, v26, 2.0, -v42
	;; [unrolled: 1-line block ×4, first 2 shown]
	v_sub_f32_e32 v12, v33, v19
	v_sub_f32_e32 v19, v38, v2
	v_fma_f32 v6, v23, 2.0, -v8
	v_fma_f32 v11, v39, 2.0, -v4
	global_store_dwordx2 v[79:80], v[3:4], off offset:1040
	v_fma_f32 v5, v31, 2.0, -v17
	v_fma_f32 v4, v34, 2.0, -v16
	global_store_dwordx2 v[63:64], v[14:15], off offset:1760
	global_store_dwordx2 v[65:66], v[16:17], off offset:1472
	v_fma_f32 v17, v41, 2.0, -v21
	v_fma_f32 v16, v29, 2.0, -v20
	v_sub_f32_e32 v23, v24, v22
	v_sub_f32_e32 v22, v25, v26
	v_fma_f32 v15, v38, 2.0, -v19
	v_fma_f32 v14, v40, 2.0, -v18
	;; [unrolled: 1-line block ×5, first 2 shown]
	global_store_dwordx2 v[73:74], v[20:21], off offset:88
	global_store_dwordx2 v[77:78], v[18:19], off offset:1328
	global_store_dwordx2 v[0:1], v[4:5], off
	v_fma_f32 v5, v24, 2.0, -v23
	v_fma_f32 v4, v25, 2.0, -v22
	global_store_dwordx2 v[69:70], v[16:17], off offset:664
	global_store_dwordx2 v[71:72], v[22:23], off offset:376
	;; [unrolled: 1-line block ×7, first 2 shown]
	global_store_dwordx2 v[36:37], v[2:3], off
	global_store_dwordx2 v[85:86], v[8:9], off offset:1184
.LBB0_25:
	s_endpgm
	.section	.rodata,"a",@progbits
	.p2align	6, 0x0
	.amdhsa_kernel fft_rtc_back_len1904_factors_17_2_2_7_4_wgs_119_tpt_119_halfLds_sp_ip_CI_unitstride_sbrr_dirReg
		.amdhsa_group_segment_fixed_size 0
		.amdhsa_private_segment_fixed_size 0
		.amdhsa_kernarg_size 88
		.amdhsa_user_sgpr_count 6
		.amdhsa_user_sgpr_private_segment_buffer 1
		.amdhsa_user_sgpr_dispatch_ptr 0
		.amdhsa_user_sgpr_queue_ptr 0
		.amdhsa_user_sgpr_kernarg_segment_ptr 1
		.amdhsa_user_sgpr_dispatch_id 0
		.amdhsa_user_sgpr_flat_scratch_init 0
		.amdhsa_user_sgpr_private_segment_size 0
		.amdhsa_wavefront_size32 1
		.amdhsa_uses_dynamic_stack 0
		.amdhsa_system_sgpr_private_segment_wavefront_offset 0
		.amdhsa_system_sgpr_workgroup_id_x 1
		.amdhsa_system_sgpr_workgroup_id_y 0
		.amdhsa_system_sgpr_workgroup_id_z 0
		.amdhsa_system_sgpr_workgroup_info 0
		.amdhsa_system_vgpr_workitem_id 0
		.amdhsa_next_free_vgpr 98
		.amdhsa_next_free_sgpr 21
		.amdhsa_reserve_vcc 1
		.amdhsa_reserve_flat_scratch 0
		.amdhsa_float_round_mode_32 0
		.amdhsa_float_round_mode_16_64 0
		.amdhsa_float_denorm_mode_32 3
		.amdhsa_float_denorm_mode_16_64 3
		.amdhsa_dx10_clamp 1
		.amdhsa_ieee_mode 1
		.amdhsa_fp16_overflow 0
		.amdhsa_workgroup_processor_mode 1
		.amdhsa_memory_ordered 1
		.amdhsa_forward_progress 0
		.amdhsa_shared_vgpr_count 0
		.amdhsa_exception_fp_ieee_invalid_op 0
		.amdhsa_exception_fp_denorm_src 0
		.amdhsa_exception_fp_ieee_div_zero 0
		.amdhsa_exception_fp_ieee_overflow 0
		.amdhsa_exception_fp_ieee_underflow 0
		.amdhsa_exception_fp_ieee_inexact 0
		.amdhsa_exception_int_div_zero 0
	.end_amdhsa_kernel
	.text
.Lfunc_end0:
	.size	fft_rtc_back_len1904_factors_17_2_2_7_4_wgs_119_tpt_119_halfLds_sp_ip_CI_unitstride_sbrr_dirReg, .Lfunc_end0-fft_rtc_back_len1904_factors_17_2_2_7_4_wgs_119_tpt_119_halfLds_sp_ip_CI_unitstride_sbrr_dirReg
                                        ; -- End function
	.section	.AMDGPU.csdata,"",@progbits
; Kernel info:
; codeLenInByte = 13472
; NumSgprs: 23
; NumVgprs: 98
; ScratchSize: 0
; MemoryBound: 0
; FloatMode: 240
; IeeeMode: 1
; LDSByteSize: 0 bytes/workgroup (compile time only)
; SGPRBlocks: 2
; VGPRBlocks: 12
; NumSGPRsForWavesPerEU: 23
; NumVGPRsForWavesPerEU: 98
; Occupancy: 9
; WaveLimiterHint : 1
; COMPUTE_PGM_RSRC2:SCRATCH_EN: 0
; COMPUTE_PGM_RSRC2:USER_SGPR: 6
; COMPUTE_PGM_RSRC2:TRAP_HANDLER: 0
; COMPUTE_PGM_RSRC2:TGID_X_EN: 1
; COMPUTE_PGM_RSRC2:TGID_Y_EN: 0
; COMPUTE_PGM_RSRC2:TGID_Z_EN: 0
; COMPUTE_PGM_RSRC2:TIDIG_COMP_CNT: 0
	.text
	.p2alignl 6, 3214868480
	.fill 48, 4, 3214868480
	.type	__hip_cuid_e6e8265b7b77b380,@object ; @__hip_cuid_e6e8265b7b77b380
	.section	.bss,"aw",@nobits
	.globl	__hip_cuid_e6e8265b7b77b380
__hip_cuid_e6e8265b7b77b380:
	.byte	0                               ; 0x0
	.size	__hip_cuid_e6e8265b7b77b380, 1

	.ident	"AMD clang version 19.0.0git (https://github.com/RadeonOpenCompute/llvm-project roc-6.4.0 25133 c7fe45cf4b819c5991fe208aaa96edf142730f1d)"
	.section	".note.GNU-stack","",@progbits
	.addrsig
	.addrsig_sym __hip_cuid_e6e8265b7b77b380
	.amdgpu_metadata
---
amdhsa.kernels:
  - .args:
      - .actual_access:  read_only
        .address_space:  global
        .offset:         0
        .size:           8
        .value_kind:     global_buffer
      - .offset:         8
        .size:           8
        .value_kind:     by_value
      - .actual_access:  read_only
        .address_space:  global
        .offset:         16
        .size:           8
        .value_kind:     global_buffer
      - .actual_access:  read_only
        .address_space:  global
        .offset:         24
        .size:           8
        .value_kind:     global_buffer
      - .offset:         32
        .size:           8
        .value_kind:     by_value
      - .actual_access:  read_only
        .address_space:  global
        .offset:         40
        .size:           8
        .value_kind:     global_buffer
      - .actual_access:  read_only
        .address_space:  global
        .offset:         48
        .size:           8
        .value_kind:     global_buffer
      - .offset:         56
        .size:           4
        .value_kind:     by_value
      - .actual_access:  read_only
        .address_space:  global
        .offset:         64
        .size:           8
        .value_kind:     global_buffer
      - .actual_access:  read_only
        .address_space:  global
        .offset:         72
        .size:           8
        .value_kind:     global_buffer
      - .address_space:  global
        .offset:         80
        .size:           8
        .value_kind:     global_buffer
    .group_segment_fixed_size: 0
    .kernarg_segment_align: 8
    .kernarg_segment_size: 88
    .language:       OpenCL C
    .language_version:
      - 2
      - 0
    .max_flat_workgroup_size: 119
    .name:           fft_rtc_back_len1904_factors_17_2_2_7_4_wgs_119_tpt_119_halfLds_sp_ip_CI_unitstride_sbrr_dirReg
    .private_segment_fixed_size: 0
    .sgpr_count:     23
    .sgpr_spill_count: 0
    .symbol:         fft_rtc_back_len1904_factors_17_2_2_7_4_wgs_119_tpt_119_halfLds_sp_ip_CI_unitstride_sbrr_dirReg.kd
    .uniform_work_group_size: 1
    .uses_dynamic_stack: false
    .vgpr_count:     98
    .vgpr_spill_count: 0
    .wavefront_size: 32
    .workgroup_processor_mode: 1
amdhsa.target:   amdgcn-amd-amdhsa--gfx1030
amdhsa.version:
  - 1
  - 2
...

	.end_amdgpu_metadata
